;; amdgpu-corpus repo=ROCm/composable_kernel kind=compiled arch=gfx950 opt=O3
	.amdgcn_target "amdgcn-amd-amdhsa--gfx950"
	.amdhsa_code_object_version 6
	.section	.text._ZN2ckL12flush_icacheEv,"axG",@progbits,_ZN2ckL12flush_icacheEv,comdat
	.globl	_ZN2ckL12flush_icacheEv         ; -- Begin function _ZN2ckL12flush_icacheEv
	.p2align	8
	.type	_ZN2ckL12flush_icacheEv,@function
_ZN2ckL12flush_icacheEv:                ; @_ZN2ckL12flush_icacheEv
; %bb.0:
	;;#ASMSTART
	s_icache_inv 
	s_nop 0 
	s_nop 0 
	;; [unrolled: 1-line block ×16, first 2 shown]
	
	;;#ASMEND
	s_endpgm
	.section	.rodata,"a",@progbits
	.p2align	6, 0x0
	.amdhsa_kernel _ZN2ckL12flush_icacheEv
		.amdhsa_group_segment_fixed_size 0
		.amdhsa_private_segment_fixed_size 0
		.amdhsa_kernarg_size 0
		.amdhsa_user_sgpr_count 0
		.amdhsa_user_sgpr_dispatch_ptr 0
		.amdhsa_user_sgpr_queue_ptr 0
		.amdhsa_user_sgpr_kernarg_segment_ptr 0
		.amdhsa_user_sgpr_dispatch_id 0
		.amdhsa_user_sgpr_kernarg_preload_length 0
		.amdhsa_user_sgpr_kernarg_preload_offset 0
		.amdhsa_user_sgpr_private_segment_size 0
		.amdhsa_uses_dynamic_stack 0
		.amdhsa_enable_private_segment 0
		.amdhsa_system_sgpr_workgroup_id_x 1
		.amdhsa_system_sgpr_workgroup_id_y 0
		.amdhsa_system_sgpr_workgroup_id_z 0
		.amdhsa_system_sgpr_workgroup_info 0
		.amdhsa_system_vgpr_workitem_id 0
		.amdhsa_next_free_vgpr 1
		.amdhsa_next_free_sgpr 0
		.amdhsa_accum_offset 4
		.amdhsa_reserve_vcc 0
		.amdhsa_float_round_mode_32 0
		.amdhsa_float_round_mode_16_64 0
		.amdhsa_float_denorm_mode_32 3
		.amdhsa_float_denorm_mode_16_64 3
		.amdhsa_dx10_clamp 1
		.amdhsa_ieee_mode 1
		.amdhsa_fp16_overflow 0
		.amdhsa_tg_split 0
		.amdhsa_exception_fp_ieee_invalid_op 0
		.amdhsa_exception_fp_denorm_src 0
		.amdhsa_exception_fp_ieee_div_zero 0
		.amdhsa_exception_fp_ieee_overflow 0
		.amdhsa_exception_fp_ieee_underflow 0
		.amdhsa_exception_fp_ieee_inexact 0
		.amdhsa_exception_int_div_zero 0
	.end_amdhsa_kernel
	.section	.text._ZN2ckL12flush_icacheEv,"axG",@progbits,_ZN2ckL12flush_icacheEv,comdat
.Lfunc_end0:
	.size	_ZN2ckL12flush_icacheEv, .Lfunc_end0-_ZN2ckL12flush_icacheEv
                                        ; -- End function
	.set _ZN2ckL12flush_icacheEv.num_vgpr, 0
	.set _ZN2ckL12flush_icacheEv.num_agpr, 0
	.set _ZN2ckL12flush_icacheEv.numbered_sgpr, 0
	.set _ZN2ckL12flush_icacheEv.num_named_barrier, 0
	.set _ZN2ckL12flush_icacheEv.private_seg_size, 0
	.set _ZN2ckL12flush_icacheEv.uses_vcc, 0
	.set _ZN2ckL12flush_icacheEv.uses_flat_scratch, 0
	.set _ZN2ckL12flush_icacheEv.has_dyn_sized_stack, 0
	.set _ZN2ckL12flush_icacheEv.has_recursion, 0
	.set _ZN2ckL12flush_icacheEv.has_indirect_call, 0
	.section	.AMDGPU.csdata,"",@progbits
; Kernel info:
; codeLenInByte = 276
; TotalNumSgprs: 6
; NumVgprs: 0
; NumAgprs: 0
; TotalNumVgprs: 0
; ScratchSize: 0
; MemoryBound: 0
; FloatMode: 240
; IeeeMode: 1
; LDSByteSize: 0 bytes/workgroup (compile time only)
; SGPRBlocks: 0
; VGPRBlocks: 0
; NumSGPRsForWavesPerEU: 6
; NumVGPRsForWavesPerEU: 1
; AccumOffset: 4
; Occupancy: 8
; WaveLimiterHint : 0
; COMPUTE_PGM_RSRC2:SCRATCH_EN: 0
; COMPUTE_PGM_RSRC2:USER_SGPR: 0
; COMPUTE_PGM_RSRC2:TRAP_HANDLER: 0
; COMPUTE_PGM_RSRC2:TGID_X_EN: 1
; COMPUTE_PGM_RSRC2:TGID_Y_EN: 0
; COMPUTE_PGM_RSRC2:TGID_Z_EN: 0
; COMPUTE_PGM_RSRC2:TIDIG_COMP_CNT: 0
; COMPUTE_PGM_RSRC3_GFX90A:ACCUM_OFFSET: 0
; COMPUTE_PGM_RSRC3_GFX90A:TG_SPLIT: 0
	.section	.text._ZN2ck19kernel_gemm_dl_v1r3INS_28GridwiseGemmDl_km_kn_mn_v1r3ILi256EDF16_fDF16_LNS_25InMemoryDataOperationEnumE0ENS_16TensorDescriptorINS_5TupleIJNS_5EmbedINS4_IJiiEEENS4_IJNS_17integral_constantIiLi1EEEiEEELb0EEENS_7UnMergeINS4_IJiNS7_IiLi2EEEEEELb0EEENS_11PassThroughIiEEEEENS4_IJNS_8SequenceIJLi0EEEENSI_IJLi2EEEENSI_IJLi1EEEEEEENS4_IJNSI_IJLi1ELi2EEEENSI_IJLi3ELi4EEEENSI_IJLi5EEEEEEENSI_IJLi3ELi5ELi4EEEElEENS3_INS4_IJNS5_IS6_NS4_IJiS8_EEELb0EEESE_SG_EEENS4_IJSJ_SL_SK_EEESQ_SR_lEENS3_INS4_IJSU_SG_SG_EEESW_NS4_IJSN_NSI_IJLi3EEEENSI_IJLi4EEEEEEESO_lEELi128ELi128ELi16ELi2ELi4ELi4ELi1ENSI_IJLi8ELi2EEEES13_NSI_IJLi2ELi1ELi4ELi2EEEENSI_IJLi8ELi1ELi32ELi1EEEENSI_IJLi0ELi3ELi1ELi2EEEES16_NSI_IJLi1ELi1ELi4ELi1EEEES16_NSI_IJLi1ELi1ELi4ELi2EEEES14_S15_S16_S16_S17_S16_S18_NSI_IJLi0ELi1ELi2ELi3ELi4ELi5EEEELi5ELi4EEEDF16_DF16_NS3_INS4_IJSA_SE_SG_SG_NSB_INS4_IJiNS7_IiLi128EEEEEELb0EEENSF_ISC_EEEEENS4_IJSJ_SK_SL_SZ_SP_S10_EEENS4_IJSN_SO_SP_NSI_IJLi6EEEENSI_IJLi7ELi8EEEENSI_IJLi9EEEEEEENSI_IJLi6ELi7ELi8ELi9EEEElEENS3_INS4_IJSU_SE_SG_SG_S1D_S1E_EEENS4_IJSJ_SL_SK_SZ_SP_S10_EEES1K_S1L_lEENS3_INS4_IJSU_SG_SG_NSB_INS4_IJiSC_NS7_IiLi64EEEEEELb0EEES1S_EEENS4_IJSJ_SL_SK_SZ_S10_EEENS4_IJSN_SZ_S10_NSI_IJLi5ELi6ELi7EEEENSI_IJLi8ELi9ELi10EEEEEEENSI_IJLi5ELi6ELi7ELi8ELi9ELi10EEEElEENS_31BlockToCTileMap_M00_N00_M01_N01ILi128ELi128ES12_Lb0EEELb1ELb1EEEvPKT0_S24_PT1_T2_T3_T4_T5_,"axG",@progbits,_ZN2ck19kernel_gemm_dl_v1r3INS_28GridwiseGemmDl_km_kn_mn_v1r3ILi256EDF16_fDF16_LNS_25InMemoryDataOperationEnumE0ENS_16TensorDescriptorINS_5TupleIJNS_5EmbedINS4_IJiiEEENS4_IJNS_17integral_constantIiLi1EEEiEEELb0EEENS_7UnMergeINS4_IJiNS7_IiLi2EEEEEELb0EEENS_11PassThroughIiEEEEENS4_IJNS_8SequenceIJLi0EEEENSI_IJLi2EEEENSI_IJLi1EEEEEEENS4_IJNSI_IJLi1ELi2EEEENSI_IJLi3ELi4EEEENSI_IJLi5EEEEEEENSI_IJLi3ELi5ELi4EEEElEENS3_INS4_IJNS5_IS6_NS4_IJiS8_EEELb0EEESE_SG_EEENS4_IJSJ_SL_SK_EEESQ_SR_lEENS3_INS4_IJSU_SG_SG_EEESW_NS4_IJSN_NSI_IJLi3EEEENSI_IJLi4EEEEEEESO_lEELi128ELi128ELi16ELi2ELi4ELi4ELi1ENSI_IJLi8ELi2EEEES13_NSI_IJLi2ELi1ELi4ELi2EEEENSI_IJLi8ELi1ELi32ELi1EEEENSI_IJLi0ELi3ELi1ELi2EEEES16_NSI_IJLi1ELi1ELi4ELi1EEEES16_NSI_IJLi1ELi1ELi4ELi2EEEES14_S15_S16_S16_S17_S16_S18_NSI_IJLi0ELi1ELi2ELi3ELi4ELi5EEEELi5ELi4EEEDF16_DF16_NS3_INS4_IJSA_SE_SG_SG_NSB_INS4_IJiNS7_IiLi128EEEEEELb0EEENSF_ISC_EEEEENS4_IJSJ_SK_SL_SZ_SP_S10_EEENS4_IJSN_SO_SP_NSI_IJLi6EEEENSI_IJLi7ELi8EEEENSI_IJLi9EEEEEEENSI_IJLi6ELi7ELi8ELi9EEEElEENS3_INS4_IJSU_SE_SG_SG_S1D_S1E_EEENS4_IJSJ_SL_SK_SZ_SP_S10_EEES1K_S1L_lEENS3_INS4_IJSU_SG_SG_NSB_INS4_IJiSC_NS7_IiLi64EEEEEELb0EEES1S_EEENS4_IJSJ_SL_SK_SZ_S10_EEENS4_IJSN_SZ_S10_NSI_IJLi5ELi6ELi7EEEENSI_IJLi8ELi9ELi10EEEEEEENSI_IJLi5ELi6ELi7ELi8ELi9ELi10EEEElEENS_31BlockToCTileMap_M00_N00_M01_N01ILi128ELi128ES12_Lb0EEELb1ELb1EEEvPKT0_S24_PT1_T2_T3_T4_T5_,comdat
	.protected	_ZN2ck19kernel_gemm_dl_v1r3INS_28GridwiseGemmDl_km_kn_mn_v1r3ILi256EDF16_fDF16_LNS_25InMemoryDataOperationEnumE0ENS_16TensorDescriptorINS_5TupleIJNS_5EmbedINS4_IJiiEEENS4_IJNS_17integral_constantIiLi1EEEiEEELb0EEENS_7UnMergeINS4_IJiNS7_IiLi2EEEEEELb0EEENS_11PassThroughIiEEEEENS4_IJNS_8SequenceIJLi0EEEENSI_IJLi2EEEENSI_IJLi1EEEEEEENS4_IJNSI_IJLi1ELi2EEEENSI_IJLi3ELi4EEEENSI_IJLi5EEEEEEENSI_IJLi3ELi5ELi4EEEElEENS3_INS4_IJNS5_IS6_NS4_IJiS8_EEELb0EEESE_SG_EEENS4_IJSJ_SL_SK_EEESQ_SR_lEENS3_INS4_IJSU_SG_SG_EEESW_NS4_IJSN_NSI_IJLi3EEEENSI_IJLi4EEEEEEESO_lEELi128ELi128ELi16ELi2ELi4ELi4ELi1ENSI_IJLi8ELi2EEEES13_NSI_IJLi2ELi1ELi4ELi2EEEENSI_IJLi8ELi1ELi32ELi1EEEENSI_IJLi0ELi3ELi1ELi2EEEES16_NSI_IJLi1ELi1ELi4ELi1EEEES16_NSI_IJLi1ELi1ELi4ELi2EEEES14_S15_S16_S16_S17_S16_S18_NSI_IJLi0ELi1ELi2ELi3ELi4ELi5EEEELi5ELi4EEEDF16_DF16_NS3_INS4_IJSA_SE_SG_SG_NSB_INS4_IJiNS7_IiLi128EEEEEELb0EEENSF_ISC_EEEEENS4_IJSJ_SK_SL_SZ_SP_S10_EEENS4_IJSN_SO_SP_NSI_IJLi6EEEENSI_IJLi7ELi8EEEENSI_IJLi9EEEEEEENSI_IJLi6ELi7ELi8ELi9EEEElEENS3_INS4_IJSU_SE_SG_SG_S1D_S1E_EEENS4_IJSJ_SL_SK_SZ_SP_S10_EEES1K_S1L_lEENS3_INS4_IJSU_SG_SG_NSB_INS4_IJiSC_NS7_IiLi64EEEEEELb0EEES1S_EEENS4_IJSJ_SL_SK_SZ_S10_EEENS4_IJSN_SZ_S10_NSI_IJLi5ELi6ELi7EEEENSI_IJLi8ELi9ELi10EEEEEEENSI_IJLi5ELi6ELi7ELi8ELi9ELi10EEEElEENS_31BlockToCTileMap_M00_N00_M01_N01ILi128ELi128ES12_Lb0EEELb1ELb1EEEvPKT0_S24_PT1_T2_T3_T4_T5_ ; -- Begin function _ZN2ck19kernel_gemm_dl_v1r3INS_28GridwiseGemmDl_km_kn_mn_v1r3ILi256EDF16_fDF16_LNS_25InMemoryDataOperationEnumE0ENS_16TensorDescriptorINS_5TupleIJNS_5EmbedINS4_IJiiEEENS4_IJNS_17integral_constantIiLi1EEEiEEELb0EEENS_7UnMergeINS4_IJiNS7_IiLi2EEEEEELb0EEENS_11PassThroughIiEEEEENS4_IJNS_8SequenceIJLi0EEEENSI_IJLi2EEEENSI_IJLi1EEEEEEENS4_IJNSI_IJLi1ELi2EEEENSI_IJLi3ELi4EEEENSI_IJLi5EEEEEEENSI_IJLi3ELi5ELi4EEEElEENS3_INS4_IJNS5_IS6_NS4_IJiS8_EEELb0EEESE_SG_EEENS4_IJSJ_SL_SK_EEESQ_SR_lEENS3_INS4_IJSU_SG_SG_EEESW_NS4_IJSN_NSI_IJLi3EEEENSI_IJLi4EEEEEEESO_lEELi128ELi128ELi16ELi2ELi4ELi4ELi1ENSI_IJLi8ELi2EEEES13_NSI_IJLi2ELi1ELi4ELi2EEEENSI_IJLi8ELi1ELi32ELi1EEEENSI_IJLi0ELi3ELi1ELi2EEEES16_NSI_IJLi1ELi1ELi4ELi1EEEES16_NSI_IJLi1ELi1ELi4ELi2EEEES14_S15_S16_S16_S17_S16_S18_NSI_IJLi0ELi1ELi2ELi3ELi4ELi5EEEELi5ELi4EEEDF16_DF16_NS3_INS4_IJSA_SE_SG_SG_NSB_INS4_IJiNS7_IiLi128EEEEEELb0EEENSF_ISC_EEEEENS4_IJSJ_SK_SL_SZ_SP_S10_EEENS4_IJSN_SO_SP_NSI_IJLi6EEEENSI_IJLi7ELi8EEEENSI_IJLi9EEEEEEENSI_IJLi6ELi7ELi8ELi9EEEElEENS3_INS4_IJSU_SE_SG_SG_S1D_S1E_EEENS4_IJSJ_SL_SK_SZ_SP_S10_EEES1K_S1L_lEENS3_INS4_IJSU_SG_SG_NSB_INS4_IJiSC_NS7_IiLi64EEEEEELb0EEES1S_EEENS4_IJSJ_SL_SK_SZ_S10_EEENS4_IJSN_SZ_S10_NSI_IJLi5ELi6ELi7EEEENSI_IJLi8ELi9ELi10EEEEEEENSI_IJLi5ELi6ELi7ELi8ELi9ELi10EEEElEENS_31BlockToCTileMap_M00_N00_M01_N01ILi128ELi128ES12_Lb0EEELb1ELb1EEEvPKT0_S24_PT1_T2_T3_T4_T5_
	.globl	_ZN2ck19kernel_gemm_dl_v1r3INS_28GridwiseGemmDl_km_kn_mn_v1r3ILi256EDF16_fDF16_LNS_25InMemoryDataOperationEnumE0ENS_16TensorDescriptorINS_5TupleIJNS_5EmbedINS4_IJiiEEENS4_IJNS_17integral_constantIiLi1EEEiEEELb0EEENS_7UnMergeINS4_IJiNS7_IiLi2EEEEEELb0EEENS_11PassThroughIiEEEEENS4_IJNS_8SequenceIJLi0EEEENSI_IJLi2EEEENSI_IJLi1EEEEEEENS4_IJNSI_IJLi1ELi2EEEENSI_IJLi3ELi4EEEENSI_IJLi5EEEEEEENSI_IJLi3ELi5ELi4EEEElEENS3_INS4_IJNS5_IS6_NS4_IJiS8_EEELb0EEESE_SG_EEENS4_IJSJ_SL_SK_EEESQ_SR_lEENS3_INS4_IJSU_SG_SG_EEESW_NS4_IJSN_NSI_IJLi3EEEENSI_IJLi4EEEEEEESO_lEELi128ELi128ELi16ELi2ELi4ELi4ELi1ENSI_IJLi8ELi2EEEES13_NSI_IJLi2ELi1ELi4ELi2EEEENSI_IJLi8ELi1ELi32ELi1EEEENSI_IJLi0ELi3ELi1ELi2EEEES16_NSI_IJLi1ELi1ELi4ELi1EEEES16_NSI_IJLi1ELi1ELi4ELi2EEEES14_S15_S16_S16_S17_S16_S18_NSI_IJLi0ELi1ELi2ELi3ELi4ELi5EEEELi5ELi4EEEDF16_DF16_NS3_INS4_IJSA_SE_SG_SG_NSB_INS4_IJiNS7_IiLi128EEEEEELb0EEENSF_ISC_EEEEENS4_IJSJ_SK_SL_SZ_SP_S10_EEENS4_IJSN_SO_SP_NSI_IJLi6EEEENSI_IJLi7ELi8EEEENSI_IJLi9EEEEEEENSI_IJLi6ELi7ELi8ELi9EEEElEENS3_INS4_IJSU_SE_SG_SG_S1D_S1E_EEENS4_IJSJ_SL_SK_SZ_SP_S10_EEES1K_S1L_lEENS3_INS4_IJSU_SG_SG_NSB_INS4_IJiSC_NS7_IiLi64EEEEEELb0EEES1S_EEENS4_IJSJ_SL_SK_SZ_S10_EEENS4_IJSN_SZ_S10_NSI_IJLi5ELi6ELi7EEEENSI_IJLi8ELi9ELi10EEEEEEENSI_IJLi5ELi6ELi7ELi8ELi9ELi10EEEElEENS_31BlockToCTileMap_M00_N00_M01_N01ILi128ELi128ES12_Lb0EEELb1ELb1EEEvPKT0_S24_PT1_T2_T3_T4_T5_
	.p2align	8
	.type	_ZN2ck19kernel_gemm_dl_v1r3INS_28GridwiseGemmDl_km_kn_mn_v1r3ILi256EDF16_fDF16_LNS_25InMemoryDataOperationEnumE0ENS_16TensorDescriptorINS_5TupleIJNS_5EmbedINS4_IJiiEEENS4_IJNS_17integral_constantIiLi1EEEiEEELb0EEENS_7UnMergeINS4_IJiNS7_IiLi2EEEEEELb0EEENS_11PassThroughIiEEEEENS4_IJNS_8SequenceIJLi0EEEENSI_IJLi2EEEENSI_IJLi1EEEEEEENS4_IJNSI_IJLi1ELi2EEEENSI_IJLi3ELi4EEEENSI_IJLi5EEEEEEENSI_IJLi3ELi5ELi4EEEElEENS3_INS4_IJNS5_IS6_NS4_IJiS8_EEELb0EEESE_SG_EEENS4_IJSJ_SL_SK_EEESQ_SR_lEENS3_INS4_IJSU_SG_SG_EEESW_NS4_IJSN_NSI_IJLi3EEEENSI_IJLi4EEEEEEESO_lEELi128ELi128ELi16ELi2ELi4ELi4ELi1ENSI_IJLi8ELi2EEEES13_NSI_IJLi2ELi1ELi4ELi2EEEENSI_IJLi8ELi1ELi32ELi1EEEENSI_IJLi0ELi3ELi1ELi2EEEES16_NSI_IJLi1ELi1ELi4ELi1EEEES16_NSI_IJLi1ELi1ELi4ELi2EEEES14_S15_S16_S16_S17_S16_S18_NSI_IJLi0ELi1ELi2ELi3ELi4ELi5EEEELi5ELi4EEEDF16_DF16_NS3_INS4_IJSA_SE_SG_SG_NSB_INS4_IJiNS7_IiLi128EEEEEELb0EEENSF_ISC_EEEEENS4_IJSJ_SK_SL_SZ_SP_S10_EEENS4_IJSN_SO_SP_NSI_IJLi6EEEENSI_IJLi7ELi8EEEENSI_IJLi9EEEEEEENSI_IJLi6ELi7ELi8ELi9EEEElEENS3_INS4_IJSU_SE_SG_SG_S1D_S1E_EEENS4_IJSJ_SL_SK_SZ_SP_S10_EEES1K_S1L_lEENS3_INS4_IJSU_SG_SG_NSB_INS4_IJiSC_NS7_IiLi64EEEEEELb0EEES1S_EEENS4_IJSJ_SL_SK_SZ_S10_EEENS4_IJSN_SZ_S10_NSI_IJLi5ELi6ELi7EEEENSI_IJLi8ELi9ELi10EEEEEEENSI_IJLi5ELi6ELi7ELi8ELi9ELi10EEEElEENS_31BlockToCTileMap_M00_N00_M01_N01ILi128ELi128ES12_Lb0EEELb1ELb1EEEvPKT0_S24_PT1_T2_T3_T4_T5_,@function
_ZN2ck19kernel_gemm_dl_v1r3INS_28GridwiseGemmDl_km_kn_mn_v1r3ILi256EDF16_fDF16_LNS_25InMemoryDataOperationEnumE0ENS_16TensorDescriptorINS_5TupleIJNS_5EmbedINS4_IJiiEEENS4_IJNS_17integral_constantIiLi1EEEiEEELb0EEENS_7UnMergeINS4_IJiNS7_IiLi2EEEEEELb0EEENS_11PassThroughIiEEEEENS4_IJNS_8SequenceIJLi0EEEENSI_IJLi2EEEENSI_IJLi1EEEEEEENS4_IJNSI_IJLi1ELi2EEEENSI_IJLi3ELi4EEEENSI_IJLi5EEEEEEENSI_IJLi3ELi5ELi4EEEElEENS3_INS4_IJNS5_IS6_NS4_IJiS8_EEELb0EEESE_SG_EEENS4_IJSJ_SL_SK_EEESQ_SR_lEENS3_INS4_IJSU_SG_SG_EEESW_NS4_IJSN_NSI_IJLi3EEEENSI_IJLi4EEEEEEESO_lEELi128ELi128ELi16ELi2ELi4ELi4ELi1ENSI_IJLi8ELi2EEEES13_NSI_IJLi2ELi1ELi4ELi2EEEENSI_IJLi8ELi1ELi32ELi1EEEENSI_IJLi0ELi3ELi1ELi2EEEES16_NSI_IJLi1ELi1ELi4ELi1EEEES16_NSI_IJLi1ELi1ELi4ELi2EEEES14_S15_S16_S16_S17_S16_S18_NSI_IJLi0ELi1ELi2ELi3ELi4ELi5EEEELi5ELi4EEEDF16_DF16_NS3_INS4_IJSA_SE_SG_SG_NSB_INS4_IJiNS7_IiLi128EEEEEELb0EEENSF_ISC_EEEEENS4_IJSJ_SK_SL_SZ_SP_S10_EEENS4_IJSN_SO_SP_NSI_IJLi6EEEENSI_IJLi7ELi8EEEENSI_IJLi9EEEEEEENSI_IJLi6ELi7ELi8ELi9EEEElEENS3_INS4_IJSU_SE_SG_SG_S1D_S1E_EEENS4_IJSJ_SL_SK_SZ_SP_S10_EEES1K_S1L_lEENS3_INS4_IJSU_SG_SG_NSB_INS4_IJiSC_NS7_IiLi64EEEEEELb0EEES1S_EEENS4_IJSJ_SL_SK_SZ_S10_EEENS4_IJSN_SZ_S10_NSI_IJLi5ELi6ELi7EEEENSI_IJLi8ELi9ELi10EEEEEEENSI_IJLi5ELi6ELi7ELi8ELi9ELi10EEEElEENS_31BlockToCTileMap_M00_N00_M01_N01ILi128ELi128ES12_Lb0EEELb1ELb1EEEvPKT0_S24_PT1_T2_T3_T4_T5_: ; @_ZN2ck19kernel_gemm_dl_v1r3INS_28GridwiseGemmDl_km_kn_mn_v1r3ILi256EDF16_fDF16_LNS_25InMemoryDataOperationEnumE0ENS_16TensorDescriptorINS_5TupleIJNS_5EmbedINS4_IJiiEEENS4_IJNS_17integral_constantIiLi1EEEiEEELb0EEENS_7UnMergeINS4_IJiNS7_IiLi2EEEEEELb0EEENS_11PassThroughIiEEEEENS4_IJNS_8SequenceIJLi0EEEENSI_IJLi2EEEENSI_IJLi1EEEEEEENS4_IJNSI_IJLi1ELi2EEEENSI_IJLi3ELi4EEEENSI_IJLi5EEEEEEENSI_IJLi3ELi5ELi4EEEElEENS3_INS4_IJNS5_IS6_NS4_IJiS8_EEELb0EEESE_SG_EEENS4_IJSJ_SL_SK_EEESQ_SR_lEENS3_INS4_IJSU_SG_SG_EEESW_NS4_IJSN_NSI_IJLi3EEEENSI_IJLi4EEEEEEESO_lEELi128ELi128ELi16ELi2ELi4ELi4ELi1ENSI_IJLi8ELi2EEEES13_NSI_IJLi2ELi1ELi4ELi2EEEENSI_IJLi8ELi1ELi32ELi1EEEENSI_IJLi0ELi3ELi1ELi2EEEES16_NSI_IJLi1ELi1ELi4ELi1EEEES16_NSI_IJLi1ELi1ELi4ELi2EEEES14_S15_S16_S16_S17_S16_S18_NSI_IJLi0ELi1ELi2ELi3ELi4ELi5EEEELi5ELi4EEEDF16_DF16_NS3_INS4_IJSA_SE_SG_SG_NSB_INS4_IJiNS7_IiLi128EEEEEELb0EEENSF_ISC_EEEEENS4_IJSJ_SK_SL_SZ_SP_S10_EEENS4_IJSN_SO_SP_NSI_IJLi6EEEENSI_IJLi7ELi8EEEENSI_IJLi9EEEEEEENSI_IJLi6ELi7ELi8ELi9EEEElEENS3_INS4_IJSU_SE_SG_SG_S1D_S1E_EEENS4_IJSJ_SL_SK_SZ_SP_S10_EEES1K_S1L_lEENS3_INS4_IJSU_SG_SG_NSB_INS4_IJiSC_NS7_IiLi64EEEEEELb0EEES1S_EEENS4_IJSJ_SL_SK_SZ_S10_EEENS4_IJSN_SZ_S10_NSI_IJLi5ELi6ELi7EEEENSI_IJLi8ELi9ELi10EEEEEEENSI_IJLi5ELi6ELi7ELi8ELi9ELi10EEEElEENS_31BlockToCTileMap_M00_N00_M01_N01ILi128ELi128ES12_Lb0EEELb1ELb1EEEvPKT0_S24_PT1_T2_T3_T4_T5_
; %bb.0:
	s_load_dwordx4 s[8:11], s[0:1], 0x0
	s_load_dwordx2 s[4:5], s[0:1], 0x10
	s_load_dwordx8 s[20:27], s[0:1], 0x10c
	s_load_dword s19, s[0:1], 0x24
	s_load_dword s33, s[0:1], 0x38
	;; [unrolled: 1-line block ×4, first 2 shown]
	s_waitcnt lgkmcnt(0)
	s_load_dword s21, s[0:1], 0x90
	s_load_dword s16, s[0:1], 0xa0
	s_load_dwordx2 s[6:7], s[0:1], 0xd0
	s_waitcnt lgkmcnt(0)
	s_load_dword s7, s[0:1], 0xec
	s_load_dwordx4 s[12:15], s[0:1], 0x130
	s_mul_hi_u32 s17, s27, s2
	s_add_i32 s17, s2, s17
	s_load_dword s23, s[0:1], 0xfc
	s_load_dwordx4 s[28:31], s[0:1], 0x108
	v_lshrrev_b32_e32 v1, 4, v0
	s_waitcnt lgkmcnt(0)
	s_lshr_b32 s0, s17, s15
	s_mul_hi_u32 s1, s0, s26
	s_add_i32 s1, s0, s1
	s_lshr_b32 s1, s1, s14
	s_mul_hi_u32 s14, s1, s25
	s_add_i32 s14, s1, s14
	s_lshr_b32 s13, s14, s13
	s_mul_i32 s15, s0, s22
	s_sub_i32 s2, s2, s15
	s_mul_hi_u32 s15, s13, s24
	s_add_i32 s15, s13, s15
	s_lshr_b32 s12, s15, s12
	s_mul_i32 s14, s13, s20
	s_mul_i32 s12, s12, s28
	s_sub_i32 s14, s1, s14
	s_mul_i32 s1, s1, s30
	s_sub_i32 s12, s13, s12
	s_sub_i32 s0, s0, s1
	s_mul_i32 s12, s12, s7
	s_add_i32 s36, s0, s12
	v_lshlrev_b32_e32 v4, 2, v0
	v_and_b32_e32 v1, 14, v1
	v_and_b32_e32 v22, 0x7c, v4
	s_lshl_b32 s7, s36, 7
	s_mul_i32 s14, s14, s23
	v_or_b32_e32 v2, s7, v22
	v_lshlrev_b32_e32 v5, 1, v1
	s_add_i32 s24, s2, s14
	v_mad_u64_u32 v[2:3], s[0:1], s19, v5, v[2:3]
	s_lshl_b32 s17, s24, 7
	v_mul_lo_u32 v3, s18, v5
	s_lshl_b32 s20, s19, 1
	v_add3_u32 v3, v3, v22, s17
	s_lshl_b32 s14, s3, 1
	s_and_b32 s13, s9, 0xffff
	s_mov_b32 s15, 0x20000
	s_mov_b32 s12, s8
	v_lshlrev_b32_e32 v5, 1, v2
	v_add_u32_e32 v6, s19, v2
	v_add_lshl_u32 v2, s20, v2, 1
	s_mov_b32 s2, s14
	s_mov_b32 s1, s13
	v_lshlrev_b32_e32 v14, 1, v6
	v_add_lshl_u32 v15, v6, s20, 1
	buffer_load_dwordx2 v[6:7], v5, s[12:15], 0 offen
	buffer_load_dwordx2 v[8:9], v14, s[12:15], 0 offen
	;; [unrolled: 1-line block ×4, first 2 shown]
	s_lshl_b32 s14, s21, 1
	s_and_b32 s13, s11, 0xffff
	s_mov_b32 s12, s10
	v_lshlrev_b32_e32 v2, 1, v3
	v_add_u32_e32 v5, s18, v3
	s_lshl_b32 s21, s18, 1
	v_lshlrev_b32_e32 v18, 1, v5
	buffer_load_dwordx2 v[14:15], v2, s[12:15], 0 offen
	buffer_load_dwordx2 v[16:17], v18, s[12:15], 0 offen
	v_add_lshl_u32 v2, v5, s21, 1
	v_add_lshl_u32 v3, s21, v3, 1
	buffer_load_dwordx2 v[18:19], v2, s[12:15], 0 offen
	buffer_load_dwordx2 v[20:21], v3, s[12:15], 0 offen
	v_lshrrev_b32_e32 v23, 5, v0
	v_lshlrev_b32_e32 v2, 1, v0
	v_lshlrev_b32_e32 v3, 6, v23
	v_and_b32_e32 v5, 0x1f8, v2
	s_mov_b32 s22, 0x7060302
	s_mov_b32 s23, 0x5040100
	v_lshlrev_b32_e32 v24, 3, v23
	v_sub_u32_e32 v3, v5, v3
	v_and_or_b32 v34, v2, 4, v24
	v_and_or_b32 v33, v4, 4, v3
	v_and_b32_e32 v0, 31, v0
	s_mov_b32 s3, s15
	s_mov_b32 s11, s15
	;; [unrolled: 1-line block ×6, first 2 shown]
	s_sub_i32 s13, s33, 32
	s_lshl_b32 s31, s24, 8
	s_lshl_b32 s24, s18, 7
	s_mul_i32 s25, s18, 0x86
	s_mul_i32 s26, s18, 0x82
	;; [unrolled: 1-line block ×5, first 2 shown]
	s_lshl_b32 s33, s19, 6
	s_lshl_b32 s42, s36, 8
	s_mul_i32 s36, s19, 0x86
	s_mul_i32 s37, s19, 0x82
	s_mul_i32 s39, s19, 0x44
	s_mul_i32 s40, s19, 0x46
	s_mul_i32 s41, s19, 0x42
	s_mov_b32 s12, 0
	v_lshlrev_b32_e32 v98, 2, v34
	v_lshlrev_b32_e32 v99, 2, v33
	s_add_i32 s25, s31, s25
	s_add_i32 s26, s31, s26
	;; [unrolled: 1-line block ×11, first 2 shown]
	v_mov_b32_e32 v32, 0
	v_mov_b32_e32 v43, 0
	;; [unrolled: 1-line block ×20, first 2 shown]
	s_waitcnt vmcnt(6)
	v_perm_b32 v5, v9, v7, s22
	v_perm_b32 v3, v8, v6, s22
	;; [unrolled: 1-line block ×4, first 2 shown]
	s_waitcnt vmcnt(4)
	v_perm_b32 v9, v11, v13, s22
	v_perm_b32 v7, v10, v12, s22
	v_perm_b32 v6, v10, v12, s23
	v_perm_b32 v8, v11, v13, s23
	v_mov_b32_e32 v53, 0
	v_mov_b32_e32 v65, 0
	s_waitcnt vmcnt(2)
	v_perm_b32 v13, v17, v15, s22
	v_perm_b32 v11, v16, v14, s22
	;; [unrolled: 1-line block ×4, first 2 shown]
	s_waitcnt vmcnt(0)
	v_perm_b32 v15, v18, v20, s22
	v_perm_b32 v14, v18, v20, s23
	v_lshlrev_b32_e32 v18, 2, v22
	v_lshl_or_b32 v100, v1, 9, v18
	v_perm_b32 v17, v19, v21, s22
	v_perm_b32 v16, v19, v21, s23
	ds_write_b128 v100, v[2:5]
	ds_write_b128 v100, v[6:9] offset:512
	ds_write_b128 v100, v[10:13] offset:16384
	ds_write_b128 v100, v[14:17] offset:16896
	v_mad_u64_u32 v[2:3], s[14:15], s18, v23, v[0:1]
	v_mad_u64_u32 v[0:1], s[34:35], s19, v23, v[0:1]
	s_lshl_b32 s14, s18, 6
	s_mul_i32 s15, s18, 0x84
	s_mul_i32 s34, s19, 0x84
	s_lshl_b32 s35, s19, 7
	v_lshl_add_u32 v101, v2, 2, s17
	v_lshlrev_b32_e32 v102, 3, v2
	s_add_i32 s15, s31, s15
	s_add_i32 s31, s31, s14
	v_lshl_add_u32 v103, v0, 2, s7
	v_lshlrev_b32_e32 v104, 3, v0
	s_add_i32 s34, s42, s34
	s_add_i32 s38, s42, s35
	s_add_i32 s42, s42, s33
	v_mov_b32_e32 v67, 0
	v_mov_b32_e32 v68, 0
	;; [unrolled: 1-line block ×42, first 2 shown]
.LBB1_1:                                ; =>This Inner Loop Header: Depth=1
	v_add_u32_e32 v16, s42, v104
	v_add_u32_e32 v17, s41, v104
	;; [unrolled: 1-line block ×8, first 2 shown]
	buffer_load_dwordx2 v[8:9], v16, s[0:3], 0 offen
	buffer_load_dwordx2 v[10:11], v17, s[0:3], 0 offen
	;; [unrolled: 1-line block ×8, first 2 shown]
	s_waitcnt lgkmcnt(0)
	s_barrier
	ds_read_b128 v[16:19], v98
	ds_read_b128 v[20:23], v99 offset:16384
	ds_read_b128 v[24:27], v99 offset:16640
	;; [unrolled: 1-line block ×3, first 2 shown]
	s_add_i32 s12, s12, 32
	s_add_i32 s28, s28, s24
	s_waitcnt lgkmcnt(2)
	v_dot2c_f32_f16_e32 v97, v16, v20
	v_dot2c_f32_f16_e32 v96, v16, v21
	v_dot2c_f32_f16_e32 v95, v16, v22
	v_dot2c_f32_f16_e32 v94, v16, v23
	v_dot2c_f32_f16_e32 v85, v17, v20
	v_dot2c_f32_f16_e32 v84, v17, v21
	v_dot2c_f32_f16_e32 v83, v17, v22
	v_dot2c_f32_f16_e32 v82, v17, v23
	v_dot2c_f32_f16_e32 v75, v18, v20
	v_dot2c_f32_f16_e32 v73, v18, v21
	v_dot2c_f32_f16_e32 v72, v18, v22
	v_dot2c_f32_f16_e32 v70, v18, v23
	v_dot2c_f32_f16_e32 v53, v19, v20
	v_dot2c_f32_f16_e32 v52, v19, v21
	v_dot2c_f32_f16_e32 v51, v19, v22
	v_dot2c_f32_f16_e32 v50, v19, v23
	s_waitcnt lgkmcnt(1)
	v_dot2c_f32_f16_e32 v93, v16, v24
	v_dot2c_f32_f16_e32 v92, v16, v25
	v_dot2c_f32_f16_e32 v91, v16, v26
	v_dot2c_f32_f16_e32 v90, v16, v27
	v_dot2c_f32_f16_e32 v89, v17, v24
	v_dot2c_f32_f16_e32 v88, v17, v25
	v_dot2c_f32_f16_e32 v87, v17, v26
	v_dot2c_f32_f16_e32 v86, v17, v27
	v_dot2c_f32_f16_e32 v69, v18, v24
	v_dot2c_f32_f16_e32 v68, v18, v25
	v_dot2c_f32_f16_e32 v67, v18, v26
	v_dot2c_f32_f16_e32 v65, v18, v27
	v_dot2c_f32_f16_e32 v59, v19, v24
	v_dot2c_f32_f16_e32 v58, v19, v25
	v_dot2c_f32_f16_e32 v57, v19, v26
	v_dot2c_f32_f16_e32 v55, v19, v27
	;; [unrolled: 17-line block ×3, first 2 shown]
	v_dot2c_f32_f16_e32 v42, v28, v24
	v_dot2c_f32_f16_e32 v41, v28, v25
	;; [unrolled: 1-line block ×16, first 2 shown]
	ds_read_b128 v[16:19], v98 offset:512
	ds_read_b128 v[20:23], v99 offset:16896
	;; [unrolled: 1-line block ×4, first 2 shown]
	s_add_i32 s29, s29, s24
	s_add_i32 s30, s30, s24
	s_waitcnt lgkmcnt(2)
	v_dot2c_f32_f16_e32 v97, v16, v20
	v_dot2c_f32_f16_e32 v96, v16, v21
	v_dot2c_f32_f16_e32 v95, v16, v22
	v_dot2c_f32_f16_e32 v94, v16, v23
	v_dot2c_f32_f16_e32 v85, v17, v20
	v_dot2c_f32_f16_e32 v84, v17, v21
	v_dot2c_f32_f16_e32 v83, v17, v22
	v_dot2c_f32_f16_e32 v82, v17, v23
	v_dot2c_f32_f16_e32 v75, v18, v20
	v_dot2c_f32_f16_e32 v73, v18, v21
	v_dot2c_f32_f16_e32 v72, v18, v22
	v_dot2c_f32_f16_e32 v70, v18, v23
	v_dot2c_f32_f16_e32 v53, v19, v20
	v_dot2c_f32_f16_e32 v52, v19, v21
	v_dot2c_f32_f16_e32 v51, v19, v22
	v_dot2c_f32_f16_e32 v50, v19, v23
	s_waitcnt lgkmcnt(1)
	v_dot2c_f32_f16_e32 v93, v16, v24
	v_dot2c_f32_f16_e32 v92, v16, v25
	v_dot2c_f32_f16_e32 v91, v16, v26
	v_dot2c_f32_f16_e32 v90, v16, v27
	v_dot2c_f32_f16_e32 v89, v17, v24
	v_dot2c_f32_f16_e32 v88, v17, v25
	v_dot2c_f32_f16_e32 v87, v17, v26
	v_dot2c_f32_f16_e32 v86, v17, v27
	v_dot2c_f32_f16_e32 v69, v18, v24
	v_dot2c_f32_f16_e32 v68, v18, v25
	v_dot2c_f32_f16_e32 v67, v18, v26
	v_dot2c_f32_f16_e32 v65, v18, v27
	v_dot2c_f32_f16_e32 v59, v19, v24
	v_dot2c_f32_f16_e32 v58, v19, v25
	v_dot2c_f32_f16_e32 v57, v19, v26
	v_dot2c_f32_f16_e32 v55, v19, v27
	;; [unrolled: 17-line block ×3, first 2 shown]
	v_dot2c_f32_f16_e32 v42, v28, v24
	v_dot2c_f32_f16_e32 v41, v28, v25
	v_dot2c_f32_f16_e32 v40, v28, v26
	v_dot2c_f32_f16_e32 v38, v28, v27
	v_dot2c_f32_f16_e32 v32, v29, v24
	v_dot2c_f32_f16_e32 v47, v29, v25
	v_dot2c_f32_f16_e32 v48, v29, v26
	v_dot2c_f32_f16_e32 v49, v29, v27
	v_dot2c_f32_f16_e32 v62, v30, v24
	v_dot2c_f32_f16_e32 v63, v30, v25
	v_dot2c_f32_f16_e32 v64, v30, v26
	v_dot2c_f32_f16_e32 v66, v30, v27
	v_dot2c_f32_f16_e32 v71, v31, v24
	v_dot2c_f32_f16_e32 v74, v31, v25
	v_dot2c_f32_f16_e32 v77, v31, v26
	v_dot2c_f32_f16_e32 v79, v31, v27
	ds_read_b128 v[16:19], v98 offset:1024
	ds_read_b128 v[20:23], v99 offset:17408
	;; [unrolled: 1-line block ×4, first 2 shown]
	s_add_i32 s31, s31, s24
	s_add_i32 s39, s39, s35
	s_waitcnt lgkmcnt(2)
	v_dot2c_f32_f16_e32 v97, v16, v20
	v_dot2c_f32_f16_e32 v96, v16, v21
	v_dot2c_f32_f16_e32 v95, v16, v22
	v_dot2c_f32_f16_e32 v94, v16, v23
	v_dot2c_f32_f16_e32 v85, v17, v20
	v_dot2c_f32_f16_e32 v84, v17, v21
	v_dot2c_f32_f16_e32 v83, v17, v22
	v_dot2c_f32_f16_e32 v82, v17, v23
	v_dot2c_f32_f16_e32 v75, v18, v20
	v_dot2c_f32_f16_e32 v73, v18, v21
	v_dot2c_f32_f16_e32 v72, v18, v22
	v_dot2c_f32_f16_e32 v70, v18, v23
	v_dot2c_f32_f16_e32 v53, v19, v20
	v_dot2c_f32_f16_e32 v52, v19, v21
	v_dot2c_f32_f16_e32 v51, v19, v22
	v_dot2c_f32_f16_e32 v50, v19, v23
	s_waitcnt lgkmcnt(1)
	v_dot2c_f32_f16_e32 v93, v16, v24
	v_dot2c_f32_f16_e32 v92, v16, v25
	v_dot2c_f32_f16_e32 v91, v16, v26
	v_dot2c_f32_f16_e32 v90, v16, v27
	v_dot2c_f32_f16_e32 v89, v17, v24
	v_dot2c_f32_f16_e32 v88, v17, v25
	v_dot2c_f32_f16_e32 v87, v17, v26
	v_dot2c_f32_f16_e32 v86, v17, v27
	v_dot2c_f32_f16_e32 v69, v18, v24
	v_dot2c_f32_f16_e32 v68, v18, v25
	v_dot2c_f32_f16_e32 v67, v18, v26
	v_dot2c_f32_f16_e32 v65, v18, v27
	v_dot2c_f32_f16_e32 v59, v19, v24
	v_dot2c_f32_f16_e32 v58, v19, v25
	v_dot2c_f32_f16_e32 v57, v19, v26
	v_dot2c_f32_f16_e32 v55, v19, v27
	;; [unrolled: 17-line block ×3, first 2 shown]
	v_dot2c_f32_f16_e32 v42, v28, v24
	v_dot2c_f32_f16_e32 v41, v28, v25
	;; [unrolled: 1-line block ×16, first 2 shown]
	ds_read_b128 v[16:19], v98 offset:1536
	ds_read_b128 v[20:23], v99 offset:17920
	;; [unrolled: 1-line block ×4, first 2 shown]
	s_add_i32 s40, s40, s35
	s_add_i32 s41, s41, s35
	s_waitcnt lgkmcnt(2)
	v_dot2c_f32_f16_e32 v97, v16, v20
	v_dot2c_f32_f16_e32 v96, v16, v21
	v_dot2c_f32_f16_e32 v95, v16, v22
	v_dot2c_f32_f16_e32 v94, v16, v23
	v_dot2c_f32_f16_e32 v85, v17, v20
	v_dot2c_f32_f16_e32 v84, v17, v21
	v_dot2c_f32_f16_e32 v83, v17, v22
	v_dot2c_f32_f16_e32 v82, v17, v23
	v_dot2c_f32_f16_e32 v75, v18, v20
	v_dot2c_f32_f16_e32 v73, v18, v21
	v_dot2c_f32_f16_e32 v72, v18, v22
	v_dot2c_f32_f16_e32 v70, v18, v23
	v_dot2c_f32_f16_e32 v53, v19, v20
	v_dot2c_f32_f16_e32 v52, v19, v21
	v_dot2c_f32_f16_e32 v51, v19, v22
	v_dot2c_f32_f16_e32 v50, v19, v23
	s_waitcnt lgkmcnt(1)
	v_dot2c_f32_f16_e32 v93, v16, v24
	v_dot2c_f32_f16_e32 v92, v16, v25
	v_dot2c_f32_f16_e32 v91, v16, v26
	v_dot2c_f32_f16_e32 v90, v16, v27
	v_dot2c_f32_f16_e32 v89, v17, v24
	v_dot2c_f32_f16_e32 v88, v17, v25
	v_dot2c_f32_f16_e32 v87, v17, v26
	v_dot2c_f32_f16_e32 v86, v17, v27
	v_dot2c_f32_f16_e32 v69, v18, v24
	v_dot2c_f32_f16_e32 v68, v18, v25
	v_dot2c_f32_f16_e32 v67, v18, v26
	v_dot2c_f32_f16_e32 v65, v18, v27
	v_dot2c_f32_f16_e32 v59, v19, v24
	v_dot2c_f32_f16_e32 v58, v19, v25
	v_dot2c_f32_f16_e32 v57, v19, v26
	v_dot2c_f32_f16_e32 v55, v19, v27
	;; [unrolled: 17-line block ×3, first 2 shown]
	v_dot2c_f32_f16_e32 v42, v28, v24
	v_dot2c_f32_f16_e32 v41, v28, v25
	;; [unrolled: 1-line block ×16, first 2 shown]
	ds_read_b128 v[16:19], v98 offset:2048
	ds_read_b128 v[20:23], v99 offset:18432
	;; [unrolled: 1-line block ×4, first 2 shown]
	s_add_i32 s42, s42, s35
	v_add_u32_e32 v101, s14, v101
	s_waitcnt lgkmcnt(2)
	v_dot2c_f32_f16_e32 v97, v16, v20
	v_dot2c_f32_f16_e32 v96, v16, v21
	v_dot2c_f32_f16_e32 v95, v16, v22
	v_dot2c_f32_f16_e32 v94, v16, v23
	v_dot2c_f32_f16_e32 v85, v17, v20
	v_dot2c_f32_f16_e32 v84, v17, v21
	v_dot2c_f32_f16_e32 v83, v17, v22
	v_dot2c_f32_f16_e32 v82, v17, v23
	v_dot2c_f32_f16_e32 v75, v18, v20
	v_dot2c_f32_f16_e32 v73, v18, v21
	v_dot2c_f32_f16_e32 v72, v18, v22
	v_dot2c_f32_f16_e32 v70, v18, v23
	v_dot2c_f32_f16_e32 v53, v19, v20
	v_dot2c_f32_f16_e32 v52, v19, v21
	v_dot2c_f32_f16_e32 v51, v19, v22
	v_dot2c_f32_f16_e32 v50, v19, v23
	s_waitcnt lgkmcnt(1)
	v_dot2c_f32_f16_e32 v93, v16, v24
	v_dot2c_f32_f16_e32 v92, v16, v25
	v_dot2c_f32_f16_e32 v91, v16, v26
	v_dot2c_f32_f16_e32 v90, v16, v27
	v_dot2c_f32_f16_e32 v89, v17, v24
	v_dot2c_f32_f16_e32 v88, v17, v25
	v_dot2c_f32_f16_e32 v87, v17, v26
	v_dot2c_f32_f16_e32 v86, v17, v27
	v_dot2c_f32_f16_e32 v69, v18, v24
	v_dot2c_f32_f16_e32 v68, v18, v25
	v_dot2c_f32_f16_e32 v67, v18, v26
	v_dot2c_f32_f16_e32 v65, v18, v27
	v_dot2c_f32_f16_e32 v59, v19, v24
	v_dot2c_f32_f16_e32 v58, v19, v25
	v_dot2c_f32_f16_e32 v57, v19, v26
	v_dot2c_f32_f16_e32 v55, v19, v27
	;; [unrolled: 17-line block ×3, first 2 shown]
	v_dot2c_f32_f16_e32 v42, v28, v24
	v_dot2c_f32_f16_e32 v41, v28, v25
	;; [unrolled: 1-line block ×16, first 2 shown]
	ds_read_b128 v[16:19], v98 offset:2560
	ds_read_b128 v[20:23], v99 offset:18944
	;; [unrolled: 1-line block ×4, first 2 shown]
	v_add_u32_e32 v103, s33, v103
	s_waitcnt lgkmcnt(2)
	v_dot2c_f32_f16_e32 v97, v16, v20
	v_dot2c_f32_f16_e32 v96, v16, v21
	v_dot2c_f32_f16_e32 v95, v16, v22
	v_dot2c_f32_f16_e32 v94, v16, v23
	v_dot2c_f32_f16_e32 v85, v17, v20
	v_dot2c_f32_f16_e32 v84, v17, v21
	v_dot2c_f32_f16_e32 v83, v17, v22
	v_dot2c_f32_f16_e32 v82, v17, v23
	v_dot2c_f32_f16_e32 v75, v18, v20
	v_dot2c_f32_f16_e32 v73, v18, v21
	v_dot2c_f32_f16_e32 v72, v18, v22
	v_dot2c_f32_f16_e32 v70, v18, v23
	v_dot2c_f32_f16_e32 v53, v19, v20
	v_dot2c_f32_f16_e32 v52, v19, v21
	v_dot2c_f32_f16_e32 v51, v19, v22
	v_dot2c_f32_f16_e32 v50, v19, v23
	s_waitcnt lgkmcnt(1)
	v_dot2c_f32_f16_e32 v93, v16, v24
	v_dot2c_f32_f16_e32 v92, v16, v25
	v_dot2c_f32_f16_e32 v91, v16, v26
	v_dot2c_f32_f16_e32 v90, v16, v27
	v_dot2c_f32_f16_e32 v89, v17, v24
	v_dot2c_f32_f16_e32 v88, v17, v25
	v_dot2c_f32_f16_e32 v87, v17, v26
	v_dot2c_f32_f16_e32 v86, v17, v27
	v_dot2c_f32_f16_e32 v69, v18, v24
	v_dot2c_f32_f16_e32 v68, v18, v25
	v_dot2c_f32_f16_e32 v67, v18, v26
	v_dot2c_f32_f16_e32 v65, v18, v27
	v_dot2c_f32_f16_e32 v59, v19, v24
	v_dot2c_f32_f16_e32 v58, v19, v25
	v_dot2c_f32_f16_e32 v57, v19, v26
	v_dot2c_f32_f16_e32 v55, v19, v27
	;; [unrolled: 17-line block ×3, first 2 shown]
	v_dot2c_f32_f16_e32 v42, v28, v24
	v_dot2c_f32_f16_e32 v41, v28, v25
	;; [unrolled: 1-line block ×16, first 2 shown]
	ds_read_b128 v[16:19], v98 offset:3072
	ds_read_b128 v[20:23], v99 offset:19456
	;; [unrolled: 1-line block ×4, first 2 shown]
	s_waitcnt lgkmcnt(2)
	v_dot2c_f32_f16_e32 v97, v16, v20
	v_dot2c_f32_f16_e32 v96, v16, v21
	v_dot2c_f32_f16_e32 v95, v16, v22
	v_dot2c_f32_f16_e32 v94, v16, v23
	v_dot2c_f32_f16_e32 v85, v17, v20
	v_dot2c_f32_f16_e32 v84, v17, v21
	v_dot2c_f32_f16_e32 v83, v17, v22
	v_dot2c_f32_f16_e32 v82, v17, v23
	v_dot2c_f32_f16_e32 v75, v18, v20
	v_dot2c_f32_f16_e32 v73, v18, v21
	v_dot2c_f32_f16_e32 v72, v18, v22
	v_dot2c_f32_f16_e32 v70, v18, v23
	v_dot2c_f32_f16_e32 v53, v19, v20
	v_dot2c_f32_f16_e32 v52, v19, v21
	v_dot2c_f32_f16_e32 v51, v19, v22
	v_dot2c_f32_f16_e32 v50, v19, v23
	s_waitcnt lgkmcnt(1)
	v_dot2c_f32_f16_e32 v93, v16, v24
	v_dot2c_f32_f16_e32 v92, v16, v25
	v_dot2c_f32_f16_e32 v91, v16, v26
	v_dot2c_f32_f16_e32 v90, v16, v27
	v_dot2c_f32_f16_e32 v89, v17, v24
	v_dot2c_f32_f16_e32 v88, v17, v25
	v_dot2c_f32_f16_e32 v87, v17, v26
	v_dot2c_f32_f16_e32 v86, v17, v27
	v_dot2c_f32_f16_e32 v69, v18, v24
	v_dot2c_f32_f16_e32 v68, v18, v25
	v_dot2c_f32_f16_e32 v67, v18, v26
	v_dot2c_f32_f16_e32 v65, v18, v27
	v_dot2c_f32_f16_e32 v59, v19, v24
	v_dot2c_f32_f16_e32 v58, v19, v25
	v_dot2c_f32_f16_e32 v57, v19, v26
	v_dot2c_f32_f16_e32 v55, v19, v27
	;; [unrolled: 17-line block ×3, first 2 shown]
	v_dot2c_f32_f16_e32 v42, v28, v24
	v_dot2c_f32_f16_e32 v41, v28, v25
	;; [unrolled: 1-line block ×16, first 2 shown]
	ds_read_b128 v[16:19], v98 offset:3584
	ds_read_b128 v[20:23], v99 offset:19968
	;; [unrolled: 1-line block ×4, first 2 shown]
	s_waitcnt lgkmcnt(2)
	v_dot2c_f32_f16_e32 v97, v16, v20
	v_dot2c_f32_f16_e32 v96, v16, v21
	v_dot2c_f32_f16_e32 v95, v16, v22
	v_dot2c_f32_f16_e32 v94, v16, v23
	v_dot2c_f32_f16_e32 v85, v17, v20
	v_dot2c_f32_f16_e32 v84, v17, v21
	v_dot2c_f32_f16_e32 v83, v17, v22
	v_dot2c_f32_f16_e32 v82, v17, v23
	v_dot2c_f32_f16_e32 v75, v18, v20
	v_dot2c_f32_f16_e32 v73, v18, v21
	v_dot2c_f32_f16_e32 v72, v18, v22
	v_dot2c_f32_f16_e32 v70, v18, v23
	v_dot2c_f32_f16_e32 v53, v19, v20
	v_dot2c_f32_f16_e32 v52, v19, v21
	v_dot2c_f32_f16_e32 v51, v19, v22
	v_dot2c_f32_f16_e32 v50, v19, v23
	s_waitcnt lgkmcnt(1)
	v_dot2c_f32_f16_e32 v93, v16, v24
	v_dot2c_f32_f16_e32 v92, v16, v25
	v_dot2c_f32_f16_e32 v91, v16, v26
	v_dot2c_f32_f16_e32 v90, v16, v27
	v_dot2c_f32_f16_e32 v89, v17, v24
	v_dot2c_f32_f16_e32 v88, v17, v25
	v_dot2c_f32_f16_e32 v87, v17, v26
	v_dot2c_f32_f16_e32 v86, v17, v27
	v_dot2c_f32_f16_e32 v69, v18, v24
	v_dot2c_f32_f16_e32 v68, v18, v25
	v_dot2c_f32_f16_e32 v67, v18, v26
	v_dot2c_f32_f16_e32 v65, v18, v27
	v_dot2c_f32_f16_e32 v59, v19, v24
	v_dot2c_f32_f16_e32 v58, v19, v25
	v_dot2c_f32_f16_e32 v57, v19, v26
	v_dot2c_f32_f16_e32 v55, v19, v27
	;; [unrolled: 17-line block ×3, first 2 shown]
	v_dot2c_f32_f16_e32 v42, v28, v24
	v_dot2c_f32_f16_e32 v41, v28, v25
	;; [unrolled: 1-line block ×16, first 2 shown]
	ds_read_b128 v[16:19], v98 offset:4096
	ds_read_b128 v[20:23], v99 offset:20480
	ds_read_b128 v[24:27], v99 offset:20736
	ds_read_b128 v[28:31], v98 offset:4352
	s_waitcnt lgkmcnt(2)
	v_dot2c_f32_f16_e32 v97, v16, v20
	v_dot2c_f32_f16_e32 v96, v16, v21
	v_dot2c_f32_f16_e32 v95, v16, v22
	v_dot2c_f32_f16_e32 v94, v16, v23
	v_dot2c_f32_f16_e32 v85, v17, v20
	v_dot2c_f32_f16_e32 v84, v17, v21
	v_dot2c_f32_f16_e32 v83, v17, v22
	v_dot2c_f32_f16_e32 v82, v17, v23
	v_dot2c_f32_f16_e32 v75, v18, v20
	v_dot2c_f32_f16_e32 v73, v18, v21
	v_dot2c_f32_f16_e32 v72, v18, v22
	v_dot2c_f32_f16_e32 v70, v18, v23
	v_dot2c_f32_f16_e32 v53, v19, v20
	v_dot2c_f32_f16_e32 v52, v19, v21
	v_dot2c_f32_f16_e32 v51, v19, v22
	v_dot2c_f32_f16_e32 v50, v19, v23
	s_waitcnt lgkmcnt(1)
	v_dot2c_f32_f16_e32 v93, v16, v24
	v_dot2c_f32_f16_e32 v92, v16, v25
	v_dot2c_f32_f16_e32 v91, v16, v26
	v_dot2c_f32_f16_e32 v90, v16, v27
	v_dot2c_f32_f16_e32 v89, v17, v24
	v_dot2c_f32_f16_e32 v88, v17, v25
	v_dot2c_f32_f16_e32 v87, v17, v26
	v_dot2c_f32_f16_e32 v86, v17, v27
	v_dot2c_f32_f16_e32 v69, v18, v24
	v_dot2c_f32_f16_e32 v68, v18, v25
	v_dot2c_f32_f16_e32 v67, v18, v26
	v_dot2c_f32_f16_e32 v65, v18, v27
	v_dot2c_f32_f16_e32 v59, v19, v24
	v_dot2c_f32_f16_e32 v58, v19, v25
	v_dot2c_f32_f16_e32 v57, v19, v26
	v_dot2c_f32_f16_e32 v55, v19, v27
	;; [unrolled: 17-line block ×3, first 2 shown]
	v_dot2c_f32_f16_e32 v42, v28, v24
	v_dot2c_f32_f16_e32 v41, v28, v25
	v_dot2c_f32_f16_e32 v40, v28, v26
	v_dot2c_f32_f16_e32 v38, v28, v27
	v_dot2c_f32_f16_e32 v32, v29, v24
	v_dot2c_f32_f16_e32 v47, v29, v25
	v_dot2c_f32_f16_e32 v48, v29, v26
	v_dot2c_f32_f16_e32 v49, v29, v27
	v_dot2c_f32_f16_e32 v62, v30, v24
	v_dot2c_f32_f16_e32 v63, v30, v25
	v_dot2c_f32_f16_e32 v64, v30, v26
	v_dot2c_f32_f16_e32 v66, v30, v27
	v_dot2c_f32_f16_e32 v71, v31, v24
	v_dot2c_f32_f16_e32 v74, v31, v25
	v_dot2c_f32_f16_e32 v77, v31, v26
	v_dot2c_f32_f16_e32 v79, v31, v27
	ds_read_b128 v[16:19], v98 offset:4608
	ds_read_b128 v[20:23], v99 offset:20992
	;; [unrolled: 1-line block ×4, first 2 shown]
	s_waitcnt lgkmcnt(2)
	v_dot2c_f32_f16_e32 v97, v16, v20
	v_dot2c_f32_f16_e32 v96, v16, v21
	v_dot2c_f32_f16_e32 v95, v16, v22
	v_dot2c_f32_f16_e32 v94, v16, v23
	v_dot2c_f32_f16_e32 v85, v17, v20
	v_dot2c_f32_f16_e32 v84, v17, v21
	v_dot2c_f32_f16_e32 v83, v17, v22
	v_dot2c_f32_f16_e32 v82, v17, v23
	v_dot2c_f32_f16_e32 v75, v18, v20
	v_dot2c_f32_f16_e32 v73, v18, v21
	v_dot2c_f32_f16_e32 v72, v18, v22
	v_dot2c_f32_f16_e32 v70, v18, v23
	v_dot2c_f32_f16_e32 v53, v19, v20
	v_dot2c_f32_f16_e32 v52, v19, v21
	v_dot2c_f32_f16_e32 v51, v19, v22
	v_dot2c_f32_f16_e32 v50, v19, v23
	s_waitcnt lgkmcnt(1)
	v_dot2c_f32_f16_e32 v93, v16, v24
	v_dot2c_f32_f16_e32 v92, v16, v25
	v_dot2c_f32_f16_e32 v91, v16, v26
	v_dot2c_f32_f16_e32 v90, v16, v27
	v_dot2c_f32_f16_e32 v89, v17, v24
	v_dot2c_f32_f16_e32 v88, v17, v25
	v_dot2c_f32_f16_e32 v87, v17, v26
	v_dot2c_f32_f16_e32 v86, v17, v27
	v_dot2c_f32_f16_e32 v69, v18, v24
	v_dot2c_f32_f16_e32 v68, v18, v25
	v_dot2c_f32_f16_e32 v67, v18, v26
	v_dot2c_f32_f16_e32 v65, v18, v27
	v_dot2c_f32_f16_e32 v59, v19, v24
	v_dot2c_f32_f16_e32 v58, v19, v25
	v_dot2c_f32_f16_e32 v57, v19, v26
	v_dot2c_f32_f16_e32 v55, v19, v27
	;; [unrolled: 17-line block ×3, first 2 shown]
	v_dot2c_f32_f16_e32 v42, v28, v24
	v_dot2c_f32_f16_e32 v41, v28, v25
	v_dot2c_f32_f16_e32 v40, v28, v26
	v_dot2c_f32_f16_e32 v38, v28, v27
	v_dot2c_f32_f16_e32 v32, v29, v24
	v_dot2c_f32_f16_e32 v47, v29, v25
	v_dot2c_f32_f16_e32 v48, v29, v26
	v_dot2c_f32_f16_e32 v49, v29, v27
	v_dot2c_f32_f16_e32 v62, v30, v24
	v_dot2c_f32_f16_e32 v63, v30, v25
	v_dot2c_f32_f16_e32 v64, v30, v26
	v_dot2c_f32_f16_e32 v66, v30, v27
	v_dot2c_f32_f16_e32 v71, v31, v24
	v_dot2c_f32_f16_e32 v74, v31, v25
	v_dot2c_f32_f16_e32 v77, v31, v26
	v_dot2c_f32_f16_e32 v79, v31, v27
	ds_read_b128 v[16:19], v98 offset:5120
	ds_read_b128 v[20:23], v99 offset:21504
	ds_read_b128 v[24:27], v99 offset:21760
	ds_read_b128 v[28:31], v98 offset:5376
	s_waitcnt lgkmcnt(2)
	v_dot2c_f32_f16_e32 v97, v16, v20
	v_dot2c_f32_f16_e32 v96, v16, v21
	v_dot2c_f32_f16_e32 v95, v16, v22
	v_dot2c_f32_f16_e32 v94, v16, v23
	v_dot2c_f32_f16_e32 v85, v17, v20
	v_dot2c_f32_f16_e32 v84, v17, v21
	v_dot2c_f32_f16_e32 v83, v17, v22
	v_dot2c_f32_f16_e32 v82, v17, v23
	v_dot2c_f32_f16_e32 v75, v18, v20
	v_dot2c_f32_f16_e32 v73, v18, v21
	v_dot2c_f32_f16_e32 v72, v18, v22
	v_dot2c_f32_f16_e32 v70, v18, v23
	v_dot2c_f32_f16_e32 v53, v19, v20
	v_dot2c_f32_f16_e32 v52, v19, v21
	v_dot2c_f32_f16_e32 v51, v19, v22
	v_dot2c_f32_f16_e32 v50, v19, v23
	s_waitcnt lgkmcnt(1)
	v_dot2c_f32_f16_e32 v93, v16, v24
	v_dot2c_f32_f16_e32 v92, v16, v25
	v_dot2c_f32_f16_e32 v91, v16, v26
	v_dot2c_f32_f16_e32 v90, v16, v27
	v_dot2c_f32_f16_e32 v89, v17, v24
	v_dot2c_f32_f16_e32 v88, v17, v25
	v_dot2c_f32_f16_e32 v87, v17, v26
	v_dot2c_f32_f16_e32 v86, v17, v27
	v_dot2c_f32_f16_e32 v69, v18, v24
	v_dot2c_f32_f16_e32 v68, v18, v25
	v_dot2c_f32_f16_e32 v67, v18, v26
	v_dot2c_f32_f16_e32 v65, v18, v27
	v_dot2c_f32_f16_e32 v59, v19, v24
	v_dot2c_f32_f16_e32 v58, v19, v25
	v_dot2c_f32_f16_e32 v57, v19, v26
	v_dot2c_f32_f16_e32 v55, v19, v27
	;; [unrolled: 17-line block ×3, first 2 shown]
	v_dot2c_f32_f16_e32 v42, v28, v24
	v_dot2c_f32_f16_e32 v41, v28, v25
	;; [unrolled: 1-line block ×16, first 2 shown]
	ds_read_b128 v[16:19], v98 offset:5632
	ds_read_b128 v[20:23], v99 offset:22016
	;; [unrolled: 1-line block ×4, first 2 shown]
	s_waitcnt lgkmcnt(2)
	v_dot2c_f32_f16_e32 v97, v16, v20
	v_dot2c_f32_f16_e32 v96, v16, v21
	v_dot2c_f32_f16_e32 v95, v16, v22
	v_dot2c_f32_f16_e32 v94, v16, v23
	v_dot2c_f32_f16_e32 v85, v17, v20
	v_dot2c_f32_f16_e32 v84, v17, v21
	v_dot2c_f32_f16_e32 v83, v17, v22
	v_dot2c_f32_f16_e32 v82, v17, v23
	v_dot2c_f32_f16_e32 v75, v18, v20
	v_dot2c_f32_f16_e32 v73, v18, v21
	v_dot2c_f32_f16_e32 v72, v18, v22
	v_dot2c_f32_f16_e32 v70, v18, v23
	v_dot2c_f32_f16_e32 v53, v19, v20
	v_dot2c_f32_f16_e32 v52, v19, v21
	v_dot2c_f32_f16_e32 v51, v19, v22
	v_dot2c_f32_f16_e32 v50, v19, v23
	s_waitcnt lgkmcnt(1)
	v_dot2c_f32_f16_e32 v93, v16, v24
	v_dot2c_f32_f16_e32 v92, v16, v25
	v_dot2c_f32_f16_e32 v91, v16, v26
	v_dot2c_f32_f16_e32 v90, v16, v27
	v_dot2c_f32_f16_e32 v89, v17, v24
	v_dot2c_f32_f16_e32 v88, v17, v25
	v_dot2c_f32_f16_e32 v87, v17, v26
	v_dot2c_f32_f16_e32 v86, v17, v27
	v_dot2c_f32_f16_e32 v69, v18, v24
	v_dot2c_f32_f16_e32 v68, v18, v25
	v_dot2c_f32_f16_e32 v67, v18, v26
	v_dot2c_f32_f16_e32 v65, v18, v27
	v_dot2c_f32_f16_e32 v59, v19, v24
	v_dot2c_f32_f16_e32 v58, v19, v25
	v_dot2c_f32_f16_e32 v57, v19, v26
	v_dot2c_f32_f16_e32 v55, v19, v27
	;; [unrolled: 17-line block ×3, first 2 shown]
	v_dot2c_f32_f16_e32 v42, v28, v24
	v_dot2c_f32_f16_e32 v41, v28, v25
	;; [unrolled: 1-line block ×16, first 2 shown]
	ds_read_b128 v[16:19], v98 offset:6144
	ds_read_b128 v[20:23], v99 offset:22528
	;; [unrolled: 1-line block ×4, first 2 shown]
	s_waitcnt lgkmcnt(2)
	v_dot2c_f32_f16_e32 v97, v16, v20
	v_dot2c_f32_f16_e32 v96, v16, v21
	v_dot2c_f32_f16_e32 v95, v16, v22
	v_dot2c_f32_f16_e32 v94, v16, v23
	v_dot2c_f32_f16_e32 v85, v17, v20
	v_dot2c_f32_f16_e32 v84, v17, v21
	v_dot2c_f32_f16_e32 v83, v17, v22
	v_dot2c_f32_f16_e32 v82, v17, v23
	v_dot2c_f32_f16_e32 v75, v18, v20
	v_dot2c_f32_f16_e32 v73, v18, v21
	v_dot2c_f32_f16_e32 v72, v18, v22
	v_dot2c_f32_f16_e32 v70, v18, v23
	v_dot2c_f32_f16_e32 v53, v19, v20
	v_dot2c_f32_f16_e32 v52, v19, v21
	v_dot2c_f32_f16_e32 v51, v19, v22
	v_dot2c_f32_f16_e32 v50, v19, v23
	s_waitcnt lgkmcnt(1)
	v_dot2c_f32_f16_e32 v93, v16, v24
	v_dot2c_f32_f16_e32 v92, v16, v25
	v_dot2c_f32_f16_e32 v91, v16, v26
	v_dot2c_f32_f16_e32 v90, v16, v27
	v_dot2c_f32_f16_e32 v89, v17, v24
	v_dot2c_f32_f16_e32 v88, v17, v25
	v_dot2c_f32_f16_e32 v87, v17, v26
	v_dot2c_f32_f16_e32 v86, v17, v27
	v_dot2c_f32_f16_e32 v69, v18, v24
	v_dot2c_f32_f16_e32 v68, v18, v25
	v_dot2c_f32_f16_e32 v67, v18, v26
	v_dot2c_f32_f16_e32 v65, v18, v27
	v_dot2c_f32_f16_e32 v59, v19, v24
	v_dot2c_f32_f16_e32 v58, v19, v25
	v_dot2c_f32_f16_e32 v57, v19, v26
	v_dot2c_f32_f16_e32 v55, v19, v27
	;; [unrolled: 17-line block ×3, first 2 shown]
	v_dot2c_f32_f16_e32 v42, v28, v24
	v_dot2c_f32_f16_e32 v41, v28, v25
	;; [unrolled: 1-line block ×16, first 2 shown]
	ds_read_b128 v[16:19], v98 offset:6656
	ds_read_b128 v[20:23], v99 offset:23040
	;; [unrolled: 1-line block ×4, first 2 shown]
	s_waitcnt lgkmcnt(2)
	v_dot2c_f32_f16_e32 v97, v16, v20
	v_dot2c_f32_f16_e32 v96, v16, v21
	v_dot2c_f32_f16_e32 v95, v16, v22
	v_dot2c_f32_f16_e32 v94, v16, v23
	v_dot2c_f32_f16_e32 v85, v17, v20
	v_dot2c_f32_f16_e32 v84, v17, v21
	v_dot2c_f32_f16_e32 v83, v17, v22
	v_dot2c_f32_f16_e32 v82, v17, v23
	v_dot2c_f32_f16_e32 v75, v18, v20
	v_dot2c_f32_f16_e32 v73, v18, v21
	v_dot2c_f32_f16_e32 v72, v18, v22
	v_dot2c_f32_f16_e32 v70, v18, v23
	v_dot2c_f32_f16_e32 v53, v19, v20
	v_dot2c_f32_f16_e32 v52, v19, v21
	v_dot2c_f32_f16_e32 v51, v19, v22
	v_dot2c_f32_f16_e32 v50, v19, v23
	s_waitcnt lgkmcnt(1)
	v_dot2c_f32_f16_e32 v93, v16, v24
	v_dot2c_f32_f16_e32 v92, v16, v25
	v_dot2c_f32_f16_e32 v91, v16, v26
	v_dot2c_f32_f16_e32 v90, v16, v27
	v_dot2c_f32_f16_e32 v89, v17, v24
	v_dot2c_f32_f16_e32 v88, v17, v25
	v_dot2c_f32_f16_e32 v87, v17, v26
	v_dot2c_f32_f16_e32 v86, v17, v27
	v_dot2c_f32_f16_e32 v69, v18, v24
	v_dot2c_f32_f16_e32 v68, v18, v25
	v_dot2c_f32_f16_e32 v67, v18, v26
	v_dot2c_f32_f16_e32 v65, v18, v27
	v_dot2c_f32_f16_e32 v59, v19, v24
	v_dot2c_f32_f16_e32 v58, v19, v25
	v_dot2c_f32_f16_e32 v57, v19, v26
	v_dot2c_f32_f16_e32 v55, v19, v27
	;; [unrolled: 17-line block ×3, first 2 shown]
	v_dot2c_f32_f16_e32 v42, v28, v24
	v_dot2c_f32_f16_e32 v41, v28, v25
	;; [unrolled: 1-line block ×16, first 2 shown]
	ds_read_b128 v[16:19], v98 offset:7168
	ds_read_b128 v[20:23], v99 offset:23552
	;; [unrolled: 1-line block ×4, first 2 shown]
	s_waitcnt lgkmcnt(2)
	v_dot2c_f32_f16_e32 v97, v16, v20
	v_dot2c_f32_f16_e32 v96, v16, v21
	v_dot2c_f32_f16_e32 v95, v16, v22
	v_dot2c_f32_f16_e32 v94, v16, v23
	v_dot2c_f32_f16_e32 v85, v17, v20
	v_dot2c_f32_f16_e32 v84, v17, v21
	v_dot2c_f32_f16_e32 v83, v17, v22
	v_dot2c_f32_f16_e32 v82, v17, v23
	v_dot2c_f32_f16_e32 v75, v18, v20
	v_dot2c_f32_f16_e32 v73, v18, v21
	v_dot2c_f32_f16_e32 v72, v18, v22
	v_dot2c_f32_f16_e32 v70, v18, v23
	v_dot2c_f32_f16_e32 v53, v19, v20
	v_dot2c_f32_f16_e32 v52, v19, v21
	v_dot2c_f32_f16_e32 v51, v19, v22
	v_dot2c_f32_f16_e32 v50, v19, v23
	s_waitcnt lgkmcnt(1)
	v_dot2c_f32_f16_e32 v93, v16, v24
	v_dot2c_f32_f16_e32 v92, v16, v25
	v_dot2c_f32_f16_e32 v91, v16, v26
	v_dot2c_f32_f16_e32 v90, v16, v27
	v_dot2c_f32_f16_e32 v89, v17, v24
	v_dot2c_f32_f16_e32 v88, v17, v25
	v_dot2c_f32_f16_e32 v87, v17, v26
	v_dot2c_f32_f16_e32 v86, v17, v27
	v_dot2c_f32_f16_e32 v69, v18, v24
	v_dot2c_f32_f16_e32 v68, v18, v25
	v_dot2c_f32_f16_e32 v67, v18, v26
	v_dot2c_f32_f16_e32 v65, v18, v27
	v_dot2c_f32_f16_e32 v59, v19, v24
	v_dot2c_f32_f16_e32 v58, v19, v25
	v_dot2c_f32_f16_e32 v57, v19, v26
	v_dot2c_f32_f16_e32 v55, v19, v27
	;; [unrolled: 17-line block ×3, first 2 shown]
	v_dot2c_f32_f16_e32 v42, v28, v24
	v_dot2c_f32_f16_e32 v41, v28, v25
	;; [unrolled: 1-line block ×16, first 2 shown]
	ds_read_b128 v[16:19], v98 offset:7680
	ds_read_b128 v[20:23], v99 offset:24064
	;; [unrolled: 1-line block ×4, first 2 shown]
	s_waitcnt lgkmcnt(2)
	v_dot2c_f32_f16_e32 v97, v16, v20
	s_waitcnt lgkmcnt(1)
	v_dot2c_f32_f16_e32 v93, v16, v24
	v_dot2c_f32_f16_e32 v92, v16, v25
	;; [unrolled: 1-line block ×16, first 2 shown]
	s_waitcnt lgkmcnt(0)
	v_dot2c_f32_f16_e32 v42, v28, v24
	v_dot2c_f32_f16_e32 v41, v28, v25
	;; [unrolled: 1-line block ×16, first 2 shown]
	s_waitcnt vmcnt(6)
	v_perm_b32 v27, v11, v9, s22
	v_perm_b32 v25, v10, v8, s22
	;; [unrolled: 1-line block ×4, first 2 shown]
	s_waitcnt vmcnt(4)
	v_perm_b32 v11, v5, v7, s22
	v_perm_b32 v9, v4, v6, s22
	;; [unrolled: 1-line block ×4, first 2 shown]
	v_dot2c_f32_f16_e32 v96, v16, v21
	v_dot2c_f32_f16_e32 v95, v16, v22
	v_dot2c_f32_f16_e32 v94, v16, v23
	v_dot2c_f32_f16_e32 v84, v17, v21
	v_dot2c_f32_f16_e32 v73, v18, v21
	v_dot2c_f32_f16_e32 v52, v19, v21
	v_dot2c_f32_f16_e32 v37, v28, v21
	v_dot2c_f32_f16_e32 v45, v29, v21
	v_dot2c_f32_f16_e32 v56, v30, v21
	v_dot2c_f32_f16_e32 v78, v31, v21
	v_add_u32_e32 v16, s38, v104
	s_waitcnt vmcnt(2)
	v_perm_b32 v7, v3, v1, s22
	v_perm_b32 v5, v2, v0, s22
	;; [unrolled: 1-line block ×4, first 2 shown]
	v_add_u32_e32 v21, s37, v104
	ds_write_b128 v100, v[24:27] offset:8192
	ds_write_b128 v100, v[8:11] offset:8704
	v_dot2c_f32_f16_e32 v85, v17, v20
	v_dot2c_f32_f16_e32 v83, v17, v22
	;; [unrolled: 1-line block ×21, first 2 shown]
	s_waitcnt vmcnt(0)
	v_perm_b32 v3, v13, v15, s22
	v_perm_b32 v1, v12, v14, s22
	;; [unrolled: 1-line block ×4, first 2 shown]
	v_add_u32_e32 v20, s36, v104
	v_add_u32_e32 v23, s34, v104
	;; [unrolled: 1-line block ×4, first 2 shown]
	buffer_load_dwordx2 v[12:13], v16, s[0:3], 0 offen
	buffer_load_dwordx2 v[8:9], v21, s[0:3], 0 offen
	;; [unrolled: 1-line block ×4, first 2 shown]
	s_nop 0
	buffer_load_dwordx2 v[16:17], v22, s[8:11], 0 offen
	ds_write_b128 v100, v[4:7] offset:24576
	v_add_u32_e32 v26, s25, v102
	v_add_u32_e32 v28, s15, v102
	buffer_load_dwordx2 v[24:25], v27, s[8:11], 0 offen
	buffer_load_dwordx2 v[20:21], v26, s[8:11], 0 offen
	;; [unrolled: 1-line block ×3, first 2 shown]
	ds_write_b128 v100, v[0:3] offset:25088
	s_waitcnt lgkmcnt(0)
	s_barrier
	ds_read_b128 v[0:3], v98 offset:8192
	ds_read_b128 v[4:7], v99 offset:24576
	;; [unrolled: 1-line block ×4, first 2 shown]
	s_add_i32 s15, s15, s24
	s_add_i32 s25, s25, s24
	s_waitcnt lgkmcnt(2)
	v_dot2c_f32_f16_e32 v97, v0, v4
	v_dot2c_f32_f16_e32 v96, v0, v5
	v_dot2c_f32_f16_e32 v95, v0, v6
	v_dot2c_f32_f16_e32 v94, v0, v7
	v_dot2c_f32_f16_e32 v85, v1, v4
	v_dot2c_f32_f16_e32 v84, v1, v5
	v_dot2c_f32_f16_e32 v83, v1, v6
	v_dot2c_f32_f16_e32 v82, v1, v7
	v_dot2c_f32_f16_e32 v75, v2, v4
	v_dot2c_f32_f16_e32 v73, v2, v5
	v_dot2c_f32_f16_e32 v72, v2, v6
	v_dot2c_f32_f16_e32 v70, v2, v7
	v_dot2c_f32_f16_e32 v53, v3, v4
	v_dot2c_f32_f16_e32 v52, v3, v5
	v_dot2c_f32_f16_e32 v51, v3, v6
	v_dot2c_f32_f16_e32 v50, v3, v7
	s_waitcnt lgkmcnt(1)
	v_dot2c_f32_f16_e32 v93, v0, v26
	v_dot2c_f32_f16_e32 v92, v0, v27
	v_dot2c_f32_f16_e32 v91, v0, v28
	v_dot2c_f32_f16_e32 v90, v0, v29
	v_dot2c_f32_f16_e32 v89, v1, v26
	v_dot2c_f32_f16_e32 v88, v1, v27
	v_dot2c_f32_f16_e32 v87, v1, v28
	v_dot2c_f32_f16_e32 v86, v1, v29
	v_dot2c_f32_f16_e32 v69, v2, v26
	v_dot2c_f32_f16_e32 v68, v2, v27
	v_dot2c_f32_f16_e32 v67, v2, v28
	v_dot2c_f32_f16_e32 v65, v2, v29
	v_dot2c_f32_f16_e32 v59, v3, v26
	v_dot2c_f32_f16_e32 v58, v3, v27
	v_dot2c_f32_f16_e32 v57, v3, v28
	v_dot2c_f32_f16_e32 v55, v3, v29
	;; [unrolled: 17-line block ×3, first 2 shown]
	v_dot2c_f32_f16_e32 v42, v106, v26
	v_dot2c_f32_f16_e32 v41, v106, v27
	;; [unrolled: 1-line block ×16, first 2 shown]
	ds_read_b128 v[0:3], v98 offset:8704
	ds_read_b128 v[4:7], v99 offset:25088
	;; [unrolled: 1-line block ×4, first 2 shown]
	s_add_i32 s26, s26, s24
	s_add_i32 s27, s27, s24
	s_waitcnt lgkmcnt(2)
	v_dot2c_f32_f16_e32 v97, v0, v4
	v_dot2c_f32_f16_e32 v96, v0, v5
	v_dot2c_f32_f16_e32 v95, v0, v6
	v_dot2c_f32_f16_e32 v94, v0, v7
	v_dot2c_f32_f16_e32 v85, v1, v4
	v_dot2c_f32_f16_e32 v84, v1, v5
	v_dot2c_f32_f16_e32 v83, v1, v6
	v_dot2c_f32_f16_e32 v82, v1, v7
	v_dot2c_f32_f16_e32 v75, v2, v4
	v_dot2c_f32_f16_e32 v73, v2, v5
	v_dot2c_f32_f16_e32 v72, v2, v6
	v_dot2c_f32_f16_e32 v70, v2, v7
	v_dot2c_f32_f16_e32 v53, v3, v4
	v_dot2c_f32_f16_e32 v52, v3, v5
	v_dot2c_f32_f16_e32 v51, v3, v6
	v_dot2c_f32_f16_e32 v50, v3, v7
	s_waitcnt lgkmcnt(1)
	v_dot2c_f32_f16_e32 v93, v0, v26
	v_dot2c_f32_f16_e32 v92, v0, v27
	v_dot2c_f32_f16_e32 v91, v0, v28
	v_dot2c_f32_f16_e32 v90, v0, v29
	v_dot2c_f32_f16_e32 v89, v1, v26
	v_dot2c_f32_f16_e32 v88, v1, v27
	v_dot2c_f32_f16_e32 v87, v1, v28
	v_dot2c_f32_f16_e32 v86, v1, v29
	v_dot2c_f32_f16_e32 v69, v2, v26
	v_dot2c_f32_f16_e32 v68, v2, v27
	v_dot2c_f32_f16_e32 v67, v2, v28
	v_dot2c_f32_f16_e32 v65, v2, v29
	v_dot2c_f32_f16_e32 v59, v3, v26
	v_dot2c_f32_f16_e32 v58, v3, v27
	v_dot2c_f32_f16_e32 v57, v3, v28
	v_dot2c_f32_f16_e32 v55, v3, v29
	;; [unrolled: 17-line block ×3, first 2 shown]
	v_dot2c_f32_f16_e32 v42, v106, v26
	v_dot2c_f32_f16_e32 v41, v106, v27
	;; [unrolled: 1-line block ×16, first 2 shown]
	ds_read_b128 v[0:3], v98 offset:9216
	ds_read_b128 v[4:7], v99 offset:25600
	;; [unrolled: 1-line block ×4, first 2 shown]
	s_waitcnt vmcnt(4)
	v_perm_b32 v11, v15, v19, s22
	v_perm_b32 v10, v15, v19, s23
	s_waitcnt lgkmcnt(2)
	v_dot2c_f32_f16_e32 v97, v0, v4
	v_dot2c_f32_f16_e32 v96, v0, v5
	v_dot2c_f32_f16_e32 v95, v0, v6
	v_dot2c_f32_f16_e32 v94, v0, v7
	v_dot2c_f32_f16_e32 v85, v1, v4
	v_dot2c_f32_f16_e32 v84, v1, v5
	v_dot2c_f32_f16_e32 v83, v1, v6
	v_dot2c_f32_f16_e32 v82, v1, v7
	v_dot2c_f32_f16_e32 v75, v2, v4
	v_dot2c_f32_f16_e32 v73, v2, v5
	v_dot2c_f32_f16_e32 v72, v2, v6
	v_dot2c_f32_f16_e32 v70, v2, v7
	v_dot2c_f32_f16_e32 v53, v3, v4
	v_dot2c_f32_f16_e32 v52, v3, v5
	v_dot2c_f32_f16_e32 v51, v3, v6
	v_dot2c_f32_f16_e32 v50, v3, v7
	s_waitcnt lgkmcnt(1)
	v_dot2c_f32_f16_e32 v93, v0, v26
	v_dot2c_f32_f16_e32 v92, v0, v27
	v_dot2c_f32_f16_e32 v91, v0, v28
	v_dot2c_f32_f16_e32 v90, v0, v29
	v_dot2c_f32_f16_e32 v89, v1, v26
	v_dot2c_f32_f16_e32 v88, v1, v27
	v_dot2c_f32_f16_e32 v87, v1, v28
	v_dot2c_f32_f16_e32 v86, v1, v29
	v_dot2c_f32_f16_e32 v69, v2, v26
	v_dot2c_f32_f16_e32 v68, v2, v27
	v_dot2c_f32_f16_e32 v67, v2, v28
	v_dot2c_f32_f16_e32 v65, v2, v29
	v_dot2c_f32_f16_e32 v59, v3, v26
	v_dot2c_f32_f16_e32 v58, v3, v27
	v_dot2c_f32_f16_e32 v57, v3, v28
	v_dot2c_f32_f16_e32 v55, v3, v29
	;; [unrolled: 17-line block ×3, first 2 shown]
	v_dot2c_f32_f16_e32 v42, v106, v26
	v_dot2c_f32_f16_e32 v41, v106, v27
	;; [unrolled: 1-line block ×16, first 2 shown]
	ds_read_b128 v[0:3], v98 offset:9728
	ds_read_b128 v[4:7], v99 offset:26112
	;; [unrolled: 1-line block ×4, first 2 shown]
	s_waitcnt vmcnt(2)
	v_perm_b32 v15, v25, v17, s22
	s_add_i32 s34, s34, s35
	s_waitcnt lgkmcnt(2)
	v_dot2c_f32_f16_e32 v97, v0, v4
	v_dot2c_f32_f16_e32 v96, v0, v5
	v_dot2c_f32_f16_e32 v95, v0, v6
	v_dot2c_f32_f16_e32 v94, v0, v7
	v_dot2c_f32_f16_e32 v85, v1, v4
	v_dot2c_f32_f16_e32 v84, v1, v5
	v_dot2c_f32_f16_e32 v83, v1, v6
	v_dot2c_f32_f16_e32 v82, v1, v7
	v_dot2c_f32_f16_e32 v75, v2, v4
	v_dot2c_f32_f16_e32 v73, v2, v5
	v_dot2c_f32_f16_e32 v72, v2, v6
	v_dot2c_f32_f16_e32 v70, v2, v7
	v_dot2c_f32_f16_e32 v53, v3, v4
	v_dot2c_f32_f16_e32 v52, v3, v5
	v_dot2c_f32_f16_e32 v51, v3, v6
	v_dot2c_f32_f16_e32 v50, v3, v7
	s_waitcnt lgkmcnt(1)
	v_dot2c_f32_f16_e32 v93, v0, v26
	v_dot2c_f32_f16_e32 v92, v0, v27
	v_dot2c_f32_f16_e32 v91, v0, v28
	v_dot2c_f32_f16_e32 v90, v0, v29
	v_dot2c_f32_f16_e32 v89, v1, v26
	v_dot2c_f32_f16_e32 v88, v1, v27
	v_dot2c_f32_f16_e32 v87, v1, v28
	v_dot2c_f32_f16_e32 v86, v1, v29
	v_dot2c_f32_f16_e32 v69, v2, v26
	v_dot2c_f32_f16_e32 v68, v2, v27
	v_dot2c_f32_f16_e32 v67, v2, v28
	v_dot2c_f32_f16_e32 v65, v2, v29
	v_dot2c_f32_f16_e32 v59, v3, v26
	v_dot2c_f32_f16_e32 v58, v3, v27
	v_dot2c_f32_f16_e32 v57, v3, v28
	v_dot2c_f32_f16_e32 v55, v3, v29
	;; [unrolled: 17-line block ×3, first 2 shown]
	v_dot2c_f32_f16_e32 v42, v106, v26
	v_dot2c_f32_f16_e32 v41, v106, v27
	;; [unrolled: 1-line block ×16, first 2 shown]
	ds_read_b128 v[0:3], v98 offset:10240
	ds_read_b128 v[4:7], v99 offset:26624
	;; [unrolled: 1-line block ×4, first 2 shown]
	s_add_i32 s36, s36, s35
	s_add_i32 s37, s37, s35
	s_waitcnt lgkmcnt(2)
	v_dot2c_f32_f16_e32 v97, v0, v4
	v_dot2c_f32_f16_e32 v96, v0, v5
	v_dot2c_f32_f16_e32 v95, v0, v6
	v_dot2c_f32_f16_e32 v94, v0, v7
	v_dot2c_f32_f16_e32 v85, v1, v4
	v_dot2c_f32_f16_e32 v84, v1, v5
	v_dot2c_f32_f16_e32 v83, v1, v6
	v_dot2c_f32_f16_e32 v82, v1, v7
	v_dot2c_f32_f16_e32 v75, v2, v4
	v_dot2c_f32_f16_e32 v73, v2, v5
	v_dot2c_f32_f16_e32 v72, v2, v6
	v_dot2c_f32_f16_e32 v70, v2, v7
	v_dot2c_f32_f16_e32 v53, v3, v4
	v_dot2c_f32_f16_e32 v52, v3, v5
	v_dot2c_f32_f16_e32 v51, v3, v6
	v_dot2c_f32_f16_e32 v50, v3, v7
	s_waitcnt lgkmcnt(1)
	v_dot2c_f32_f16_e32 v93, v0, v26
	v_dot2c_f32_f16_e32 v92, v0, v27
	v_dot2c_f32_f16_e32 v91, v0, v28
	v_dot2c_f32_f16_e32 v90, v0, v29
	v_dot2c_f32_f16_e32 v89, v1, v26
	v_dot2c_f32_f16_e32 v88, v1, v27
	v_dot2c_f32_f16_e32 v87, v1, v28
	v_dot2c_f32_f16_e32 v86, v1, v29
	v_dot2c_f32_f16_e32 v69, v2, v26
	v_dot2c_f32_f16_e32 v68, v2, v27
	v_dot2c_f32_f16_e32 v67, v2, v28
	v_dot2c_f32_f16_e32 v65, v2, v29
	v_dot2c_f32_f16_e32 v59, v3, v26
	v_dot2c_f32_f16_e32 v58, v3, v27
	v_dot2c_f32_f16_e32 v57, v3, v28
	v_dot2c_f32_f16_e32 v55, v3, v29
	s_waitcnt lgkmcnt(0)
	v_dot2c_f32_f16_e32 v39, v106, v4
	v_dot2c_f32_f16_e32 v37, v106, v5
	v_dot2c_f32_f16_e32 v36, v106, v6
	v_dot2c_f32_f16_e32 v35, v106, v7
	v_dot2c_f32_f16_e32 v46, v107, v4
	v_dot2c_f32_f16_e32 v45, v107, v5
	v_dot2c_f32_f16_e32 v44, v107, v6
	v_dot2c_f32_f16_e32 v43, v107, v7
	v_dot2c_f32_f16_e32 v54, v108, v4
	v_dot2c_f32_f16_e32 v56, v108, v5
	v_dot2c_f32_f16_e32 v60, v108, v6
	v_dot2c_f32_f16_e32 v61, v108, v7
	v_dot2c_f32_f16_e32 v76, v109, v4
	v_dot2c_f32_f16_e32 v78, v109, v5
	v_dot2c_f32_f16_e32 v80, v109, v6
	v_dot2c_f32_f16_e32 v81, v109, v7
	v_dot2c_f32_f16_e32 v42, v106, v26
	v_dot2c_f32_f16_e32 v41, v106, v27
	;; [unrolled: 1-line block ×16, first 2 shown]
	ds_read_b128 v[0:3], v98 offset:10752
	ds_read_b128 v[4:7], v99 offset:27136
	;; [unrolled: 1-line block ×4, first 2 shown]
	s_add_i32 s38, s38, s35
	s_cmp_lt_i32 s12, s13
	s_waitcnt lgkmcnt(2)
	v_dot2c_f32_f16_e32 v97, v0, v4
	v_dot2c_f32_f16_e32 v96, v0, v5
	v_dot2c_f32_f16_e32 v95, v0, v6
	v_dot2c_f32_f16_e32 v94, v0, v7
	v_dot2c_f32_f16_e32 v85, v1, v4
	v_dot2c_f32_f16_e32 v84, v1, v5
	v_dot2c_f32_f16_e32 v83, v1, v6
	v_dot2c_f32_f16_e32 v82, v1, v7
	v_dot2c_f32_f16_e32 v75, v2, v4
	v_dot2c_f32_f16_e32 v73, v2, v5
	v_dot2c_f32_f16_e32 v72, v2, v6
	v_dot2c_f32_f16_e32 v70, v2, v7
	v_dot2c_f32_f16_e32 v53, v3, v4
	v_dot2c_f32_f16_e32 v52, v3, v5
	v_dot2c_f32_f16_e32 v51, v3, v6
	v_dot2c_f32_f16_e32 v50, v3, v7
	s_waitcnt lgkmcnt(1)
	v_dot2c_f32_f16_e32 v93, v0, v26
	v_dot2c_f32_f16_e32 v92, v0, v27
	v_dot2c_f32_f16_e32 v91, v0, v28
	v_dot2c_f32_f16_e32 v90, v0, v29
	v_dot2c_f32_f16_e32 v89, v1, v26
	v_dot2c_f32_f16_e32 v88, v1, v27
	v_dot2c_f32_f16_e32 v87, v1, v28
	v_dot2c_f32_f16_e32 v86, v1, v29
	v_dot2c_f32_f16_e32 v69, v2, v26
	v_dot2c_f32_f16_e32 v68, v2, v27
	v_dot2c_f32_f16_e32 v67, v2, v28
	v_dot2c_f32_f16_e32 v65, v2, v29
	v_dot2c_f32_f16_e32 v59, v3, v26
	v_dot2c_f32_f16_e32 v58, v3, v27
	v_dot2c_f32_f16_e32 v57, v3, v28
	v_dot2c_f32_f16_e32 v55, v3, v29
	;; [unrolled: 17-line block ×3, first 2 shown]
	v_dot2c_f32_f16_e32 v42, v106, v26
	v_dot2c_f32_f16_e32 v41, v106, v27
	;; [unrolled: 1-line block ×16, first 2 shown]
	ds_read_b128 v[0:3], v98 offset:11264
	ds_read_b128 v[4:7], v99 offset:27648
	;; [unrolled: 1-line block ×4, first 2 shown]
	s_waitcnt lgkmcnt(2)
	v_dot2c_f32_f16_e32 v97, v0, v4
	v_dot2c_f32_f16_e32 v96, v0, v5
	v_dot2c_f32_f16_e32 v95, v0, v6
	v_dot2c_f32_f16_e32 v94, v0, v7
	v_dot2c_f32_f16_e32 v85, v1, v4
	v_dot2c_f32_f16_e32 v84, v1, v5
	v_dot2c_f32_f16_e32 v83, v1, v6
	v_dot2c_f32_f16_e32 v82, v1, v7
	v_dot2c_f32_f16_e32 v75, v2, v4
	v_dot2c_f32_f16_e32 v73, v2, v5
	v_dot2c_f32_f16_e32 v72, v2, v6
	v_dot2c_f32_f16_e32 v70, v2, v7
	v_dot2c_f32_f16_e32 v53, v3, v4
	v_dot2c_f32_f16_e32 v52, v3, v5
	v_dot2c_f32_f16_e32 v51, v3, v6
	v_dot2c_f32_f16_e32 v50, v3, v7
	s_waitcnt lgkmcnt(1)
	v_dot2c_f32_f16_e32 v93, v0, v26
	v_dot2c_f32_f16_e32 v92, v0, v27
	v_dot2c_f32_f16_e32 v91, v0, v28
	v_dot2c_f32_f16_e32 v90, v0, v29
	v_dot2c_f32_f16_e32 v89, v1, v26
	v_dot2c_f32_f16_e32 v88, v1, v27
	v_dot2c_f32_f16_e32 v87, v1, v28
	v_dot2c_f32_f16_e32 v86, v1, v29
	v_dot2c_f32_f16_e32 v69, v2, v26
	v_dot2c_f32_f16_e32 v68, v2, v27
	v_dot2c_f32_f16_e32 v67, v2, v28
	v_dot2c_f32_f16_e32 v65, v2, v29
	v_dot2c_f32_f16_e32 v59, v3, v26
	v_dot2c_f32_f16_e32 v58, v3, v27
	v_dot2c_f32_f16_e32 v57, v3, v28
	v_dot2c_f32_f16_e32 v55, v3, v29
	;; [unrolled: 17-line block ×3, first 2 shown]
	v_dot2c_f32_f16_e32 v42, v106, v26
	v_dot2c_f32_f16_e32 v41, v106, v27
	;; [unrolled: 1-line block ×16, first 2 shown]
	ds_read_b128 v[0:3], v98 offset:11776
	ds_read_b128 v[4:7], v99 offset:28160
	ds_read_b128 v[26:29], v99 offset:28416
	ds_read_b128 v[106:109], v98 offset:12032
	s_waitcnt lgkmcnt(2)
	v_dot2c_f32_f16_e32 v97, v0, v4
	v_dot2c_f32_f16_e32 v96, v0, v5
	v_dot2c_f32_f16_e32 v95, v0, v6
	v_dot2c_f32_f16_e32 v94, v0, v7
	v_dot2c_f32_f16_e32 v85, v1, v4
	v_dot2c_f32_f16_e32 v84, v1, v5
	v_dot2c_f32_f16_e32 v83, v1, v6
	v_dot2c_f32_f16_e32 v82, v1, v7
	v_dot2c_f32_f16_e32 v75, v2, v4
	v_dot2c_f32_f16_e32 v73, v2, v5
	v_dot2c_f32_f16_e32 v72, v2, v6
	v_dot2c_f32_f16_e32 v70, v2, v7
	v_dot2c_f32_f16_e32 v53, v3, v4
	v_dot2c_f32_f16_e32 v52, v3, v5
	v_dot2c_f32_f16_e32 v51, v3, v6
	v_dot2c_f32_f16_e32 v50, v3, v7
	s_waitcnt lgkmcnt(1)
	v_dot2c_f32_f16_e32 v93, v0, v26
	v_dot2c_f32_f16_e32 v92, v0, v27
	v_dot2c_f32_f16_e32 v91, v0, v28
	v_dot2c_f32_f16_e32 v90, v0, v29
	v_dot2c_f32_f16_e32 v89, v1, v26
	v_dot2c_f32_f16_e32 v88, v1, v27
	v_dot2c_f32_f16_e32 v87, v1, v28
	v_dot2c_f32_f16_e32 v86, v1, v29
	v_dot2c_f32_f16_e32 v69, v2, v26
	v_dot2c_f32_f16_e32 v68, v2, v27
	v_dot2c_f32_f16_e32 v67, v2, v28
	v_dot2c_f32_f16_e32 v65, v2, v29
	v_dot2c_f32_f16_e32 v59, v3, v26
	v_dot2c_f32_f16_e32 v58, v3, v27
	v_dot2c_f32_f16_e32 v57, v3, v28
	v_dot2c_f32_f16_e32 v55, v3, v29
	;; [unrolled: 17-line block ×3, first 2 shown]
	v_dot2c_f32_f16_e32 v42, v106, v26
	v_dot2c_f32_f16_e32 v41, v106, v27
	;; [unrolled: 1-line block ×16, first 2 shown]
	ds_read_b128 v[0:3], v98 offset:12288
	ds_read_b128 v[4:7], v99 offset:28672
	;; [unrolled: 1-line block ×4, first 2 shown]
	s_waitcnt lgkmcnt(2)
	v_dot2c_f32_f16_e32 v97, v0, v4
	v_dot2c_f32_f16_e32 v96, v0, v5
	v_dot2c_f32_f16_e32 v95, v0, v6
	v_dot2c_f32_f16_e32 v94, v0, v7
	v_dot2c_f32_f16_e32 v85, v1, v4
	v_dot2c_f32_f16_e32 v84, v1, v5
	v_dot2c_f32_f16_e32 v83, v1, v6
	v_dot2c_f32_f16_e32 v82, v1, v7
	v_dot2c_f32_f16_e32 v75, v2, v4
	v_dot2c_f32_f16_e32 v73, v2, v5
	v_dot2c_f32_f16_e32 v72, v2, v6
	v_dot2c_f32_f16_e32 v70, v2, v7
	v_dot2c_f32_f16_e32 v53, v3, v4
	v_dot2c_f32_f16_e32 v52, v3, v5
	v_dot2c_f32_f16_e32 v51, v3, v6
	v_dot2c_f32_f16_e32 v50, v3, v7
	s_waitcnt lgkmcnt(1)
	v_dot2c_f32_f16_e32 v93, v0, v26
	v_dot2c_f32_f16_e32 v92, v0, v27
	v_dot2c_f32_f16_e32 v91, v0, v28
	v_dot2c_f32_f16_e32 v90, v0, v29
	v_dot2c_f32_f16_e32 v89, v1, v26
	v_dot2c_f32_f16_e32 v88, v1, v27
	v_dot2c_f32_f16_e32 v87, v1, v28
	v_dot2c_f32_f16_e32 v86, v1, v29
	v_dot2c_f32_f16_e32 v69, v2, v26
	v_dot2c_f32_f16_e32 v68, v2, v27
	v_dot2c_f32_f16_e32 v67, v2, v28
	v_dot2c_f32_f16_e32 v65, v2, v29
	v_dot2c_f32_f16_e32 v59, v3, v26
	v_dot2c_f32_f16_e32 v58, v3, v27
	v_dot2c_f32_f16_e32 v57, v3, v28
	v_dot2c_f32_f16_e32 v55, v3, v29
	;; [unrolled: 17-line block ×3, first 2 shown]
	v_dot2c_f32_f16_e32 v42, v106, v26
	v_dot2c_f32_f16_e32 v41, v106, v27
	;; [unrolled: 1-line block ×16, first 2 shown]
	ds_read_b128 v[0:3], v98 offset:12800
	ds_read_b128 v[4:7], v99 offset:29184
	;; [unrolled: 1-line block ×4, first 2 shown]
	s_waitcnt lgkmcnt(2)
	v_dot2c_f32_f16_e32 v97, v0, v4
	v_dot2c_f32_f16_e32 v96, v0, v5
	v_dot2c_f32_f16_e32 v95, v0, v6
	v_dot2c_f32_f16_e32 v94, v0, v7
	v_dot2c_f32_f16_e32 v85, v1, v4
	v_dot2c_f32_f16_e32 v84, v1, v5
	v_dot2c_f32_f16_e32 v83, v1, v6
	v_dot2c_f32_f16_e32 v82, v1, v7
	v_dot2c_f32_f16_e32 v75, v2, v4
	v_dot2c_f32_f16_e32 v73, v2, v5
	v_dot2c_f32_f16_e32 v72, v2, v6
	v_dot2c_f32_f16_e32 v70, v2, v7
	v_dot2c_f32_f16_e32 v53, v3, v4
	v_dot2c_f32_f16_e32 v52, v3, v5
	v_dot2c_f32_f16_e32 v51, v3, v6
	v_dot2c_f32_f16_e32 v50, v3, v7
	s_waitcnt lgkmcnt(1)
	v_dot2c_f32_f16_e32 v93, v0, v26
	v_dot2c_f32_f16_e32 v92, v0, v27
	v_dot2c_f32_f16_e32 v91, v0, v28
	v_dot2c_f32_f16_e32 v90, v0, v29
	v_dot2c_f32_f16_e32 v89, v1, v26
	v_dot2c_f32_f16_e32 v88, v1, v27
	v_dot2c_f32_f16_e32 v87, v1, v28
	v_dot2c_f32_f16_e32 v86, v1, v29
	v_dot2c_f32_f16_e32 v69, v2, v26
	v_dot2c_f32_f16_e32 v68, v2, v27
	v_dot2c_f32_f16_e32 v67, v2, v28
	v_dot2c_f32_f16_e32 v65, v2, v29
	v_dot2c_f32_f16_e32 v59, v3, v26
	v_dot2c_f32_f16_e32 v58, v3, v27
	v_dot2c_f32_f16_e32 v57, v3, v28
	v_dot2c_f32_f16_e32 v55, v3, v29
	;; [unrolled: 17-line block ×3, first 2 shown]
	v_dot2c_f32_f16_e32 v42, v106, v26
	v_dot2c_f32_f16_e32 v41, v106, v27
	;; [unrolled: 1-line block ×16, first 2 shown]
	ds_read_b128 v[0:3], v98 offset:13312
	ds_read_b128 v[4:7], v99 offset:29696
	;; [unrolled: 1-line block ×4, first 2 shown]
	s_waitcnt lgkmcnt(2)
	v_dot2c_f32_f16_e32 v97, v0, v4
	v_dot2c_f32_f16_e32 v96, v0, v5
	v_dot2c_f32_f16_e32 v95, v0, v6
	v_dot2c_f32_f16_e32 v94, v0, v7
	v_dot2c_f32_f16_e32 v85, v1, v4
	v_dot2c_f32_f16_e32 v84, v1, v5
	v_dot2c_f32_f16_e32 v83, v1, v6
	v_dot2c_f32_f16_e32 v82, v1, v7
	v_dot2c_f32_f16_e32 v75, v2, v4
	v_dot2c_f32_f16_e32 v73, v2, v5
	v_dot2c_f32_f16_e32 v72, v2, v6
	v_dot2c_f32_f16_e32 v70, v2, v7
	v_dot2c_f32_f16_e32 v53, v3, v4
	v_dot2c_f32_f16_e32 v52, v3, v5
	v_dot2c_f32_f16_e32 v51, v3, v6
	v_dot2c_f32_f16_e32 v50, v3, v7
	s_waitcnt lgkmcnt(1)
	v_dot2c_f32_f16_e32 v93, v0, v26
	v_dot2c_f32_f16_e32 v92, v0, v27
	v_dot2c_f32_f16_e32 v91, v0, v28
	v_dot2c_f32_f16_e32 v90, v0, v29
	v_dot2c_f32_f16_e32 v89, v1, v26
	v_dot2c_f32_f16_e32 v88, v1, v27
	v_dot2c_f32_f16_e32 v87, v1, v28
	v_dot2c_f32_f16_e32 v86, v1, v29
	v_dot2c_f32_f16_e32 v69, v2, v26
	v_dot2c_f32_f16_e32 v68, v2, v27
	v_dot2c_f32_f16_e32 v67, v2, v28
	v_dot2c_f32_f16_e32 v65, v2, v29
	v_dot2c_f32_f16_e32 v59, v3, v26
	v_dot2c_f32_f16_e32 v58, v3, v27
	v_dot2c_f32_f16_e32 v57, v3, v28
	v_dot2c_f32_f16_e32 v55, v3, v29
	;; [unrolled: 17-line block ×3, first 2 shown]
	v_dot2c_f32_f16_e32 v42, v106, v26
	v_dot2c_f32_f16_e32 v41, v106, v27
	;; [unrolled: 1-line block ×16, first 2 shown]
	ds_read_b128 v[0:3], v98 offset:13824
	ds_read_b128 v[4:7], v99 offset:30208
	;; [unrolled: 1-line block ×4, first 2 shown]
	s_waitcnt lgkmcnt(2)
	v_dot2c_f32_f16_e32 v97, v0, v4
	v_dot2c_f32_f16_e32 v96, v0, v5
	v_dot2c_f32_f16_e32 v95, v0, v6
	v_dot2c_f32_f16_e32 v94, v0, v7
	v_dot2c_f32_f16_e32 v85, v1, v4
	v_dot2c_f32_f16_e32 v84, v1, v5
	v_dot2c_f32_f16_e32 v83, v1, v6
	v_dot2c_f32_f16_e32 v82, v1, v7
	v_dot2c_f32_f16_e32 v75, v2, v4
	v_dot2c_f32_f16_e32 v73, v2, v5
	v_dot2c_f32_f16_e32 v72, v2, v6
	v_dot2c_f32_f16_e32 v70, v2, v7
	v_dot2c_f32_f16_e32 v53, v3, v4
	v_dot2c_f32_f16_e32 v52, v3, v5
	v_dot2c_f32_f16_e32 v51, v3, v6
	v_dot2c_f32_f16_e32 v50, v3, v7
	s_waitcnt lgkmcnt(1)
	v_dot2c_f32_f16_e32 v93, v0, v26
	v_dot2c_f32_f16_e32 v92, v0, v27
	v_dot2c_f32_f16_e32 v91, v0, v28
	v_dot2c_f32_f16_e32 v90, v0, v29
	v_dot2c_f32_f16_e32 v89, v1, v26
	v_dot2c_f32_f16_e32 v88, v1, v27
	v_dot2c_f32_f16_e32 v87, v1, v28
	v_dot2c_f32_f16_e32 v86, v1, v29
	v_dot2c_f32_f16_e32 v69, v2, v26
	v_dot2c_f32_f16_e32 v68, v2, v27
	v_dot2c_f32_f16_e32 v67, v2, v28
	v_dot2c_f32_f16_e32 v65, v2, v29
	v_dot2c_f32_f16_e32 v59, v3, v26
	v_dot2c_f32_f16_e32 v58, v3, v27
	v_dot2c_f32_f16_e32 v57, v3, v28
	v_dot2c_f32_f16_e32 v55, v3, v29
	;; [unrolled: 17-line block ×3, first 2 shown]
	v_dot2c_f32_f16_e32 v42, v106, v26
	v_dot2c_f32_f16_e32 v41, v106, v27
	;; [unrolled: 1-line block ×16, first 2 shown]
	ds_read_b128 v[0:3], v98 offset:14336
	ds_read_b128 v[4:7], v99 offset:30720
	;; [unrolled: 1-line block ×4, first 2 shown]
	s_waitcnt lgkmcnt(2)
	v_dot2c_f32_f16_e32 v97, v0, v4
	v_dot2c_f32_f16_e32 v96, v0, v5
	v_dot2c_f32_f16_e32 v95, v0, v6
	v_dot2c_f32_f16_e32 v94, v0, v7
	v_dot2c_f32_f16_e32 v85, v1, v4
	v_dot2c_f32_f16_e32 v84, v1, v5
	v_dot2c_f32_f16_e32 v83, v1, v6
	v_dot2c_f32_f16_e32 v82, v1, v7
	v_dot2c_f32_f16_e32 v75, v2, v4
	v_dot2c_f32_f16_e32 v73, v2, v5
	v_dot2c_f32_f16_e32 v72, v2, v6
	v_dot2c_f32_f16_e32 v70, v2, v7
	v_dot2c_f32_f16_e32 v53, v3, v4
	v_dot2c_f32_f16_e32 v52, v3, v5
	v_dot2c_f32_f16_e32 v51, v3, v6
	v_dot2c_f32_f16_e32 v50, v3, v7
	s_waitcnt lgkmcnt(1)
	v_dot2c_f32_f16_e32 v93, v0, v26
	v_dot2c_f32_f16_e32 v92, v0, v27
	v_dot2c_f32_f16_e32 v91, v0, v28
	v_dot2c_f32_f16_e32 v90, v0, v29
	v_dot2c_f32_f16_e32 v89, v1, v26
	v_dot2c_f32_f16_e32 v88, v1, v27
	v_dot2c_f32_f16_e32 v87, v1, v28
	v_dot2c_f32_f16_e32 v86, v1, v29
	v_dot2c_f32_f16_e32 v69, v2, v26
	v_dot2c_f32_f16_e32 v68, v2, v27
	v_dot2c_f32_f16_e32 v67, v2, v28
	v_dot2c_f32_f16_e32 v65, v2, v29
	v_dot2c_f32_f16_e32 v59, v3, v26
	v_dot2c_f32_f16_e32 v58, v3, v27
	v_dot2c_f32_f16_e32 v57, v3, v28
	v_dot2c_f32_f16_e32 v55, v3, v29
	;; [unrolled: 17-line block ×3, first 2 shown]
	v_dot2c_f32_f16_e32 v42, v106, v26
	v_dot2c_f32_f16_e32 v41, v106, v27
	;; [unrolled: 1-line block ×16, first 2 shown]
	ds_read_b128 v[0:3], v98 offset:14848
	ds_read_b128 v[4:7], v99 offset:31232
	;; [unrolled: 1-line block ×4, first 2 shown]
	s_waitcnt lgkmcnt(2)
	v_dot2c_f32_f16_e32 v97, v0, v4
	v_dot2c_f32_f16_e32 v96, v0, v5
	v_dot2c_f32_f16_e32 v95, v0, v6
	v_dot2c_f32_f16_e32 v94, v0, v7
	v_dot2c_f32_f16_e32 v85, v1, v4
	v_dot2c_f32_f16_e32 v84, v1, v5
	v_dot2c_f32_f16_e32 v83, v1, v6
	v_dot2c_f32_f16_e32 v82, v1, v7
	v_dot2c_f32_f16_e32 v75, v2, v4
	v_dot2c_f32_f16_e32 v73, v2, v5
	v_dot2c_f32_f16_e32 v72, v2, v6
	v_dot2c_f32_f16_e32 v70, v2, v7
	v_dot2c_f32_f16_e32 v53, v3, v4
	v_dot2c_f32_f16_e32 v52, v3, v5
	v_dot2c_f32_f16_e32 v51, v3, v6
	v_dot2c_f32_f16_e32 v50, v3, v7
	s_waitcnt lgkmcnt(1)
	v_dot2c_f32_f16_e32 v93, v0, v26
	v_dot2c_f32_f16_e32 v92, v0, v27
	v_dot2c_f32_f16_e32 v91, v0, v28
	v_dot2c_f32_f16_e32 v90, v0, v29
	v_dot2c_f32_f16_e32 v89, v1, v26
	v_dot2c_f32_f16_e32 v88, v1, v27
	v_dot2c_f32_f16_e32 v87, v1, v28
	v_dot2c_f32_f16_e32 v86, v1, v29
	v_dot2c_f32_f16_e32 v69, v2, v26
	v_dot2c_f32_f16_e32 v68, v2, v27
	v_dot2c_f32_f16_e32 v67, v2, v28
	v_dot2c_f32_f16_e32 v65, v2, v29
	v_dot2c_f32_f16_e32 v59, v3, v26
	v_dot2c_f32_f16_e32 v58, v3, v27
	v_dot2c_f32_f16_e32 v57, v3, v28
	v_dot2c_f32_f16_e32 v55, v3, v29
	;; [unrolled: 17-line block ×3, first 2 shown]
	v_dot2c_f32_f16_e32 v42, v106, v26
	v_dot2c_f32_f16_e32 v41, v106, v27
	;; [unrolled: 1-line block ×16, first 2 shown]
	ds_read_b128 v[0:3], v98 offset:15360
	ds_read_b128 v[4:7], v99 offset:31744
	;; [unrolled: 1-line block ×4, first 2 shown]
	s_waitcnt lgkmcnt(2)
	v_dot2c_f32_f16_e32 v97, v0, v4
	v_dot2c_f32_f16_e32 v96, v0, v5
	v_dot2c_f32_f16_e32 v95, v0, v6
	v_dot2c_f32_f16_e32 v94, v0, v7
	v_dot2c_f32_f16_e32 v85, v1, v4
	v_dot2c_f32_f16_e32 v84, v1, v5
	v_dot2c_f32_f16_e32 v83, v1, v6
	v_dot2c_f32_f16_e32 v82, v1, v7
	v_dot2c_f32_f16_e32 v75, v2, v4
	v_dot2c_f32_f16_e32 v73, v2, v5
	v_dot2c_f32_f16_e32 v72, v2, v6
	v_dot2c_f32_f16_e32 v70, v2, v7
	v_dot2c_f32_f16_e32 v53, v3, v4
	v_dot2c_f32_f16_e32 v52, v3, v5
	v_dot2c_f32_f16_e32 v51, v3, v6
	v_dot2c_f32_f16_e32 v50, v3, v7
	s_waitcnt lgkmcnt(1)
	v_dot2c_f32_f16_e32 v93, v0, v26
	v_dot2c_f32_f16_e32 v92, v0, v27
	v_dot2c_f32_f16_e32 v91, v0, v28
	v_dot2c_f32_f16_e32 v90, v0, v29
	v_dot2c_f32_f16_e32 v89, v1, v26
	v_dot2c_f32_f16_e32 v88, v1, v27
	v_dot2c_f32_f16_e32 v87, v1, v28
	v_dot2c_f32_f16_e32 v86, v1, v29
	v_dot2c_f32_f16_e32 v69, v2, v26
	v_dot2c_f32_f16_e32 v68, v2, v27
	v_dot2c_f32_f16_e32 v67, v2, v28
	v_dot2c_f32_f16_e32 v65, v2, v29
	v_dot2c_f32_f16_e32 v59, v3, v26
	v_dot2c_f32_f16_e32 v58, v3, v27
	v_dot2c_f32_f16_e32 v57, v3, v28
	v_dot2c_f32_f16_e32 v55, v3, v29
	;; [unrolled: 17-line block ×3, first 2 shown]
	v_dot2c_f32_f16_e32 v42, v106, v26
	v_dot2c_f32_f16_e32 v41, v106, v27
	;; [unrolled: 1-line block ×16, first 2 shown]
	v_perm_b32 v7, v9, v13, s22
	v_perm_b32 v5, v8, v12, s22
	;; [unrolled: 1-line block ×9, first 2 shown]
	s_waitcnt vmcnt(0)
	v_perm_b32 v3, v21, v23, s22
	v_perm_b32 v1, v20, v22, s22
	;; [unrolled: 1-line block ×4, first 2 shown]
	ds_read_b128 v[24:27], v99 offset:32256
	ds_read_b128 v[16:19], v99 offset:32512
	;; [unrolled: 1-line block ×4, first 2 shown]
	ds_write_b128 v100, v[4:7]
	ds_write_b128 v100, v[8:11] offset:512
	ds_write_b128 v100, v[12:15] offset:16384
	;; [unrolled: 1-line block ×3, first 2 shown]
	s_waitcnt lgkmcnt(5)
	v_dot2c_f32_f16_e32 v97, v28, v24
	v_dot2c_f32_f16_e32 v96, v28, v25
	;; [unrolled: 1-line block ×32, first 2 shown]
	s_waitcnt lgkmcnt(4)
	v_dot2c_f32_f16_e32 v39, v20, v24
	v_dot2c_f32_f16_e32 v37, v20, v25
	;; [unrolled: 1-line block ×32, first 2 shown]
	s_cbranch_scc1 .LBB1_1
; %bb.2:
	s_mul_i32 s13, s19, 3
	s_mul_i32 s15, s19, 30
	s_add_i32 s22, s15, s20
	s_add_i32 s15, s15, s13
	v_add_lshl_u32 v0, s22, v103, 1
	v_add_u32_e32 v1, s15, v103
	s_mul_i32 s12, s18, 3
	s_mul_i32 s14, s18, 30
	s_waitcnt lgkmcnt(0)
	s_barrier
	v_lshlrev_b32_e32 v2, 1, v1
	buffer_load_dwordx2 v[4:5], v0, s[0:3], 0 offen
	buffer_load_dwordx2 v[6:7], v2, s[0:3], 0 offen
	v_add_u32_e32 v0, s20, v1
	s_add_i32 s23, s14, s21
	v_lshlrev_b32_e32 v1, 1, v0
	v_subrev_u32_e32 v0, s19, v0
	s_add_i32 s14, s14, s12
	v_lshlrev_b32_e32 v0, 1, v0
	v_add_lshl_u32 v2, s23, v101, 1
	v_add_u32_e32 v3, s14, v101
	v_lshlrev_b32_e32 v16, 1, v3
	buffer_load_dwordx2 v[8:9], v2, s[8:11], 0 offen
	buffer_load_dwordx2 v[10:11], v16, s[8:11], 0 offen
	;; [unrolled: 1-line block ×4, first 2 shown]
	v_add_u32_e32 v0, s21, v3
	v_lshlrev_b32_e32 v1, 1, v0
	v_subrev_u32_e32 v0, s18, v0
	v_lshlrev_b32_e32 v0, 1, v0
	buffer_load_dwordx2 v[102:103], v1, s[8:11], 0 offen
	buffer_load_dwordx2 v[104:105], v0, s[8:11], 0 offen
	ds_read_b128 v[0:3], v98
	ds_read_b128 v[16:19], v99 offset:16384
	ds_read_b128 v[20:23], v99 offset:16640
	;; [unrolled: 1-line block ×4, first 2 shown]
	s_mov_b32 s0, 0x7060302
	s_mov_b32 s1, 0x5040100
	s_waitcnt lgkmcnt(2)
	v_dot2c_f32_f16_e32 v93, v0, v20
	v_dot2c_f32_f16_e32 v97, v0, v16
	;; [unrolled: 1-line block ×32, first 2 shown]
	s_waitcnt lgkmcnt(1)
	v_dot2c_f32_f16_e32 v39, v24, v16
	v_dot2c_f32_f16_e32 v37, v24, v17
	v_dot2c_f32_f16_e32 v36, v24, v18
	v_dot2c_f32_f16_e32 v35, v24, v19
	v_dot2c_f32_f16_e32 v46, v25, v16
	v_dot2c_f32_f16_e32 v45, v25, v17
	v_dot2c_f32_f16_e32 v44, v25, v18
	v_dot2c_f32_f16_e32 v43, v25, v19
	v_dot2c_f32_f16_e32 v54, v26, v16
	v_dot2c_f32_f16_e32 v56, v26, v17
	v_dot2c_f32_f16_e32 v60, v26, v18
	v_dot2c_f32_f16_e32 v61, v26, v19
	v_dot2c_f32_f16_e32 v76, v27, v16
	v_dot2c_f32_f16_e32 v78, v27, v17
	v_dot2c_f32_f16_e32 v80, v27, v18
	v_dot2c_f32_f16_e32 v81, v27, v19
	ds_read_b128 v[16:19], v99 offset:16896
	v_dot2c_f32_f16_e32 v42, v24, v20
	v_dot2c_f32_f16_e32 v41, v24, v21
	;; [unrolled: 1-line block ×16, first 2 shown]
	ds_read_b128 v[20:23], v99 offset:17152
	ds_read_b128 v[24:27], v98 offset:768
	s_waitcnt lgkmcnt(2)
	v_dot2c_f32_f16_e32 v97, v28, v16
	v_dot2c_f32_f16_e32 v96, v28, v17
	v_dot2c_f32_f16_e32 v95, v28, v18
	v_dot2c_f32_f16_e32 v94, v28, v19
	v_dot2c_f32_f16_e32 v85, v29, v16
	v_dot2c_f32_f16_e32 v84, v29, v17
	v_dot2c_f32_f16_e32 v83, v29, v18
	v_dot2c_f32_f16_e32 v82, v29, v19
	v_dot2c_f32_f16_e32 v75, v30, v16
	v_dot2c_f32_f16_e32 v73, v30, v17
	v_dot2c_f32_f16_e32 v72, v30, v18
	v_dot2c_f32_f16_e32 v70, v30, v19
	v_dot2c_f32_f16_e32 v53, v31, v16
	v_dot2c_f32_f16_e32 v52, v31, v17
	v_dot2c_f32_f16_e32 v51, v31, v18
	v_dot2c_f32_f16_e32 v50, v31, v19
	s_waitcnt lgkmcnt(1)
	v_dot2c_f32_f16_e32 v93, v28, v20
	v_dot2c_f32_f16_e32 v92, v28, v21
	;; [unrolled: 1-line block ×16, first 2 shown]
	ds_read_b128 v[28:31], v98 offset:1024
	s_waitcnt lgkmcnt(1)
	v_dot2c_f32_f16_e32 v39, v24, v16
	v_dot2c_f32_f16_e32 v37, v24, v17
	;; [unrolled: 1-line block ×16, first 2 shown]
	ds_read_b128 v[16:19], v99 offset:17408
	v_dot2c_f32_f16_e32 v42, v24, v20
	v_dot2c_f32_f16_e32 v41, v24, v21
	;; [unrolled: 1-line block ×16, first 2 shown]
	ds_read_b128 v[20:23], v99 offset:17664
	ds_read_b128 v[24:27], v98 offset:1280
	s_waitcnt lgkmcnt(2)
	v_dot2c_f32_f16_e32 v97, v28, v16
	v_dot2c_f32_f16_e32 v96, v28, v17
	;; [unrolled: 1-line block ×16, first 2 shown]
	s_waitcnt lgkmcnt(1)
	v_dot2c_f32_f16_e32 v93, v28, v20
	v_dot2c_f32_f16_e32 v92, v28, v21
	;; [unrolled: 1-line block ×16, first 2 shown]
	ds_read_b128 v[28:31], v98 offset:1536
	s_waitcnt lgkmcnt(1)
	v_dot2c_f32_f16_e32 v39, v24, v16
	v_dot2c_f32_f16_e32 v37, v24, v17
	;; [unrolled: 1-line block ×16, first 2 shown]
	ds_read_b128 v[16:19], v99 offset:17920
	v_dot2c_f32_f16_e32 v42, v24, v20
	v_dot2c_f32_f16_e32 v41, v24, v21
	;; [unrolled: 1-line block ×16, first 2 shown]
	ds_read_b128 v[20:23], v99 offset:18176
	ds_read_b128 v[24:27], v98 offset:1792
	s_waitcnt lgkmcnt(2)
	v_dot2c_f32_f16_e32 v97, v28, v16
	v_dot2c_f32_f16_e32 v96, v28, v17
	;; [unrolled: 1-line block ×16, first 2 shown]
	s_waitcnt lgkmcnt(1)
	v_dot2c_f32_f16_e32 v93, v28, v20
	v_dot2c_f32_f16_e32 v92, v28, v21
	;; [unrolled: 1-line block ×16, first 2 shown]
	ds_read_b128 v[28:31], v98 offset:2048
	s_waitcnt lgkmcnt(1)
	v_dot2c_f32_f16_e32 v39, v24, v16
	v_dot2c_f32_f16_e32 v37, v24, v17
	;; [unrolled: 1-line block ×16, first 2 shown]
	ds_read_b128 v[16:19], v99 offset:18432
	v_dot2c_f32_f16_e32 v42, v24, v20
	v_dot2c_f32_f16_e32 v41, v24, v21
	;; [unrolled: 1-line block ×16, first 2 shown]
	ds_read_b128 v[20:23], v99 offset:18688
	ds_read_b128 v[24:27], v98 offset:2304
	s_waitcnt lgkmcnt(2)
	v_dot2c_f32_f16_e32 v97, v28, v16
	v_dot2c_f32_f16_e32 v96, v28, v17
	;; [unrolled: 1-line block ×16, first 2 shown]
	s_waitcnt lgkmcnt(1)
	v_dot2c_f32_f16_e32 v93, v28, v20
	v_dot2c_f32_f16_e32 v92, v28, v21
	;; [unrolled: 1-line block ×16, first 2 shown]
	ds_read_b128 v[28:31], v98 offset:2560
	s_waitcnt lgkmcnt(1)
	v_dot2c_f32_f16_e32 v39, v24, v16
	v_dot2c_f32_f16_e32 v37, v24, v17
	;; [unrolled: 1-line block ×16, first 2 shown]
	ds_read_b128 v[16:19], v99 offset:18944
	v_dot2c_f32_f16_e32 v42, v24, v20
	v_dot2c_f32_f16_e32 v41, v24, v21
	;; [unrolled: 1-line block ×16, first 2 shown]
	ds_read_b128 v[20:23], v99 offset:19200
	ds_read_b128 v[24:27], v98 offset:2816
	s_waitcnt lgkmcnt(2)
	v_dot2c_f32_f16_e32 v97, v28, v16
	v_dot2c_f32_f16_e32 v96, v28, v17
	;; [unrolled: 1-line block ×16, first 2 shown]
	s_waitcnt lgkmcnt(1)
	v_dot2c_f32_f16_e32 v93, v28, v20
	v_dot2c_f32_f16_e32 v92, v28, v21
	;; [unrolled: 1-line block ×16, first 2 shown]
	ds_read_b128 v[28:31], v98 offset:3072
	s_waitcnt lgkmcnt(1)
	v_dot2c_f32_f16_e32 v39, v24, v16
	v_dot2c_f32_f16_e32 v37, v24, v17
	;; [unrolled: 1-line block ×16, first 2 shown]
	ds_read_b128 v[16:19], v99 offset:19456
	v_dot2c_f32_f16_e32 v42, v24, v20
	v_dot2c_f32_f16_e32 v41, v24, v21
	;; [unrolled: 1-line block ×16, first 2 shown]
	ds_read_b128 v[20:23], v99 offset:19712
	ds_read_b128 v[24:27], v98 offset:3328
	s_waitcnt lgkmcnt(2)
	v_dot2c_f32_f16_e32 v97, v28, v16
	v_dot2c_f32_f16_e32 v96, v28, v17
	v_dot2c_f32_f16_e32 v95, v28, v18
	v_dot2c_f32_f16_e32 v94, v28, v19
	v_dot2c_f32_f16_e32 v85, v29, v16
	v_dot2c_f32_f16_e32 v84, v29, v17
	v_dot2c_f32_f16_e32 v83, v29, v18
	v_dot2c_f32_f16_e32 v82, v29, v19
	v_dot2c_f32_f16_e32 v75, v30, v16
	v_dot2c_f32_f16_e32 v73, v30, v17
	v_dot2c_f32_f16_e32 v72, v30, v18
	v_dot2c_f32_f16_e32 v70, v30, v19
	v_dot2c_f32_f16_e32 v53, v31, v16
	v_dot2c_f32_f16_e32 v52, v31, v17
	v_dot2c_f32_f16_e32 v51, v31, v18
	v_dot2c_f32_f16_e32 v50, v31, v19
	s_waitcnt lgkmcnt(1)
	v_dot2c_f32_f16_e32 v93, v28, v20
	v_dot2c_f32_f16_e32 v92, v28, v21
	;; [unrolled: 1-line block ×16, first 2 shown]
	ds_read_b128 v[28:31], v98 offset:3584
	s_waitcnt lgkmcnt(1)
	v_dot2c_f32_f16_e32 v39, v24, v16
	v_dot2c_f32_f16_e32 v37, v24, v17
	;; [unrolled: 1-line block ×16, first 2 shown]
	ds_read_b128 v[16:19], v99 offset:19968
	v_dot2c_f32_f16_e32 v42, v24, v20
	v_dot2c_f32_f16_e32 v41, v24, v21
	;; [unrolled: 1-line block ×16, first 2 shown]
	ds_read_b128 v[20:23], v99 offset:20224
	ds_read_b128 v[24:27], v98 offset:3840
	s_waitcnt lgkmcnt(2)
	v_dot2c_f32_f16_e32 v97, v28, v16
	v_dot2c_f32_f16_e32 v96, v28, v17
	;; [unrolled: 1-line block ×16, first 2 shown]
	s_waitcnt lgkmcnt(1)
	v_dot2c_f32_f16_e32 v93, v28, v20
	v_dot2c_f32_f16_e32 v92, v28, v21
	;; [unrolled: 1-line block ×16, first 2 shown]
	ds_read_b128 v[28:31], v98 offset:4096
	s_waitcnt lgkmcnt(1)
	v_dot2c_f32_f16_e32 v39, v24, v16
	v_dot2c_f32_f16_e32 v37, v24, v17
	;; [unrolled: 1-line block ×16, first 2 shown]
	ds_read_b128 v[16:19], v99 offset:20480
	v_dot2c_f32_f16_e32 v42, v24, v20
	v_dot2c_f32_f16_e32 v41, v24, v21
	;; [unrolled: 1-line block ×16, first 2 shown]
	ds_read_b128 v[20:23], v99 offset:20736
	ds_read_b128 v[24:27], v98 offset:4352
	s_waitcnt lgkmcnt(2)
	v_dot2c_f32_f16_e32 v97, v28, v16
	v_dot2c_f32_f16_e32 v96, v28, v17
	;; [unrolled: 1-line block ×16, first 2 shown]
	s_waitcnt lgkmcnt(1)
	v_dot2c_f32_f16_e32 v93, v28, v20
	v_dot2c_f32_f16_e32 v92, v28, v21
	;; [unrolled: 1-line block ×16, first 2 shown]
	ds_read_b128 v[28:31], v98 offset:4608
	s_waitcnt lgkmcnt(1)
	v_dot2c_f32_f16_e32 v39, v24, v16
	v_dot2c_f32_f16_e32 v37, v24, v17
	;; [unrolled: 1-line block ×16, first 2 shown]
	ds_read_b128 v[16:19], v99 offset:20992
	v_dot2c_f32_f16_e32 v42, v24, v20
	v_dot2c_f32_f16_e32 v41, v24, v21
	;; [unrolled: 1-line block ×16, first 2 shown]
	ds_read_b128 v[20:23], v99 offset:21248
	ds_read_b128 v[24:27], v98 offset:4864
	s_waitcnt lgkmcnt(2)
	v_dot2c_f32_f16_e32 v97, v28, v16
	v_dot2c_f32_f16_e32 v96, v28, v17
	;; [unrolled: 1-line block ×16, first 2 shown]
	s_waitcnt lgkmcnt(1)
	v_dot2c_f32_f16_e32 v93, v28, v20
	v_dot2c_f32_f16_e32 v92, v28, v21
	;; [unrolled: 1-line block ×16, first 2 shown]
	ds_read_b128 v[28:31], v98 offset:5120
	s_waitcnt lgkmcnt(1)
	v_dot2c_f32_f16_e32 v39, v24, v16
	v_dot2c_f32_f16_e32 v37, v24, v17
	;; [unrolled: 1-line block ×16, first 2 shown]
	ds_read_b128 v[16:19], v99 offset:21504
	v_dot2c_f32_f16_e32 v42, v24, v20
	v_dot2c_f32_f16_e32 v41, v24, v21
	;; [unrolled: 1-line block ×16, first 2 shown]
	ds_read_b128 v[20:23], v99 offset:21760
	ds_read_b128 v[24:27], v98 offset:5376
	s_waitcnt lgkmcnt(2)
	v_dot2c_f32_f16_e32 v97, v28, v16
	v_dot2c_f32_f16_e32 v96, v28, v17
	;; [unrolled: 1-line block ×16, first 2 shown]
	s_waitcnt lgkmcnt(1)
	v_dot2c_f32_f16_e32 v93, v28, v20
	v_dot2c_f32_f16_e32 v92, v28, v21
	;; [unrolled: 1-line block ×16, first 2 shown]
	ds_read_b128 v[28:31], v98 offset:5632
	s_waitcnt lgkmcnt(1)
	v_dot2c_f32_f16_e32 v39, v24, v16
	v_dot2c_f32_f16_e32 v37, v24, v17
	;; [unrolled: 1-line block ×16, first 2 shown]
	ds_read_b128 v[16:19], v99 offset:22016
	v_dot2c_f32_f16_e32 v42, v24, v20
	v_dot2c_f32_f16_e32 v41, v24, v21
	;; [unrolled: 1-line block ×16, first 2 shown]
	ds_read_b128 v[20:23], v99 offset:22272
	ds_read_b128 v[24:27], v98 offset:5888
	s_waitcnt lgkmcnt(2)
	v_dot2c_f32_f16_e32 v97, v28, v16
	v_dot2c_f32_f16_e32 v96, v28, v17
	v_dot2c_f32_f16_e32 v95, v28, v18
	v_dot2c_f32_f16_e32 v94, v28, v19
	v_dot2c_f32_f16_e32 v85, v29, v16
	v_dot2c_f32_f16_e32 v84, v29, v17
	v_dot2c_f32_f16_e32 v83, v29, v18
	v_dot2c_f32_f16_e32 v82, v29, v19
	v_dot2c_f32_f16_e32 v75, v30, v16
	v_dot2c_f32_f16_e32 v73, v30, v17
	v_dot2c_f32_f16_e32 v72, v30, v18
	v_dot2c_f32_f16_e32 v70, v30, v19
	v_dot2c_f32_f16_e32 v53, v31, v16
	v_dot2c_f32_f16_e32 v52, v31, v17
	v_dot2c_f32_f16_e32 v51, v31, v18
	v_dot2c_f32_f16_e32 v50, v31, v19
	s_waitcnt lgkmcnt(1)
	v_dot2c_f32_f16_e32 v93, v28, v20
	v_dot2c_f32_f16_e32 v92, v28, v21
	;; [unrolled: 1-line block ×16, first 2 shown]
	ds_read_b128 v[28:31], v98 offset:6144
	s_waitcnt lgkmcnt(1)
	v_dot2c_f32_f16_e32 v39, v24, v16
	v_dot2c_f32_f16_e32 v37, v24, v17
	v_dot2c_f32_f16_e32 v36, v24, v18
	v_dot2c_f32_f16_e32 v35, v24, v19
	v_dot2c_f32_f16_e32 v46, v25, v16
	v_dot2c_f32_f16_e32 v45, v25, v17
	v_dot2c_f32_f16_e32 v44, v25, v18
	v_dot2c_f32_f16_e32 v43, v25, v19
	v_dot2c_f32_f16_e32 v54, v26, v16
	v_dot2c_f32_f16_e32 v56, v26, v17
	v_dot2c_f32_f16_e32 v60, v26, v18
	v_dot2c_f32_f16_e32 v61, v26, v19
	v_dot2c_f32_f16_e32 v76, v27, v16
	v_dot2c_f32_f16_e32 v78, v27, v17
	v_dot2c_f32_f16_e32 v80, v27, v18
	v_dot2c_f32_f16_e32 v81, v27, v19
	ds_read_b128 v[16:19], v99 offset:22528
	v_dot2c_f32_f16_e32 v42, v24, v20
	v_dot2c_f32_f16_e32 v41, v24, v21
	;; [unrolled: 1-line block ×16, first 2 shown]
	ds_read_b128 v[20:23], v99 offset:22784
	ds_read_b128 v[24:27], v98 offset:6400
	s_waitcnt lgkmcnt(2)
	v_dot2c_f32_f16_e32 v97, v28, v16
	v_dot2c_f32_f16_e32 v96, v28, v17
	;; [unrolled: 1-line block ×16, first 2 shown]
	s_waitcnt lgkmcnt(1)
	v_dot2c_f32_f16_e32 v93, v28, v20
	v_dot2c_f32_f16_e32 v92, v28, v21
	;; [unrolled: 1-line block ×16, first 2 shown]
	ds_read_b128 v[28:31], v98 offset:6656
	s_waitcnt lgkmcnt(1)
	v_dot2c_f32_f16_e32 v39, v24, v16
	v_dot2c_f32_f16_e32 v37, v24, v17
	;; [unrolled: 1-line block ×16, first 2 shown]
	ds_read_b128 v[16:19], v99 offset:23040
	v_dot2c_f32_f16_e32 v42, v24, v20
	v_dot2c_f32_f16_e32 v41, v24, v21
	;; [unrolled: 1-line block ×16, first 2 shown]
	ds_read_b128 v[20:23], v99 offset:23296
	ds_read_b128 v[24:27], v98 offset:6912
	s_waitcnt lgkmcnt(2)
	v_dot2c_f32_f16_e32 v97, v28, v16
	v_dot2c_f32_f16_e32 v96, v28, v17
	;; [unrolled: 1-line block ×16, first 2 shown]
	s_waitcnt lgkmcnt(1)
	v_dot2c_f32_f16_e32 v93, v28, v20
	v_dot2c_f32_f16_e32 v92, v28, v21
	;; [unrolled: 1-line block ×16, first 2 shown]
	ds_read_b128 v[28:31], v98 offset:7168
	s_waitcnt lgkmcnt(1)
	v_dot2c_f32_f16_e32 v39, v24, v16
	v_dot2c_f32_f16_e32 v37, v24, v17
	;; [unrolled: 1-line block ×16, first 2 shown]
	ds_read_b128 v[16:19], v99 offset:23552
	v_dot2c_f32_f16_e32 v42, v24, v20
	v_dot2c_f32_f16_e32 v41, v24, v21
	;; [unrolled: 1-line block ×16, first 2 shown]
	ds_read_b128 v[20:23], v99 offset:23808
	ds_read_b128 v[24:27], v98 offset:7424
	s_waitcnt vmcnt(6)
	v_perm_b32 v3, v7, v5, s0
	v_perm_b32 v1, v6, v4, s0
	v_perm_b32 v0, v6, v4, s1
	v_perm_b32 v2, v7, v5, s1
	s_waitcnt vmcnt(4)
	v_perm_b32 v7, v11, v9, s0
	v_perm_b32 v5, v10, v8, s0
	v_perm_b32 v4, v10, v8, s1
	v_perm_b32 v6, v11, v9, s1
	;; [unrolled: 5-line block ×4, first 2 shown]
	s_waitcnt lgkmcnt(2)
	v_dot2c_f32_f16_e32 v97, v28, v16
	v_dot2c_f32_f16_e32 v96, v28, v17
	;; [unrolled: 1-line block ×16, first 2 shown]
	s_waitcnt lgkmcnt(1)
	v_dot2c_f32_f16_e32 v93, v28, v20
	v_dot2c_f32_f16_e32 v92, v28, v21
	;; [unrolled: 1-line block ×16, first 2 shown]
	ds_read_b128 v[28:31], v98 offset:7680
	s_waitcnt lgkmcnt(1)
	v_dot2c_f32_f16_e32 v39, v24, v16
	v_dot2c_f32_f16_e32 v37, v24, v17
	;; [unrolled: 1-line block ×16, first 2 shown]
	ds_read_b128 v[16:19], v99 offset:24064
	v_dot2c_f32_f16_e32 v42, v24, v20
	v_dot2c_f32_f16_e32 v41, v24, v21
	;; [unrolled: 1-line block ×16, first 2 shown]
	ds_read_b128 v[20:23], v99 offset:24320
	ds_read_b128 v[24:27], v98 offset:7936
	ds_write_b128 v100, v[0:3] offset:8192
	ds_write_b128 v100, v[8:11] offset:8704
	;; [unrolled: 1-line block ×4, first 2 shown]
	s_waitcnt lgkmcnt(0)
	s_barrier
	ds_read_b128 v[0:3], v98 offset:8192
	ds_read_b128 v[4:7], v99 offset:24576
	;; [unrolled: 1-line block ×4, first 2 shown]
	v_dot2c_f32_f16_e32 v97, v28, v16
	v_dot2c_f32_f16_e32 v96, v28, v17
	;; [unrolled: 1-line block ×64, first 2 shown]
	s_waitcnt lgkmcnt(2)
	v_dot2c_f32_f16_e32 v97, v0, v4
	v_dot2c_f32_f16_e32 v96, v0, v5
	;; [unrolled: 1-line block ×16, first 2 shown]
	s_waitcnt lgkmcnt(1)
	v_dot2c_f32_f16_e32 v93, v0, v8
	v_dot2c_f32_f16_e32 v92, v0, v9
	;; [unrolled: 1-line block ×16, first 2 shown]
	ds_read_b128 v[0:3], v98 offset:8704
	s_waitcnt lgkmcnt(1)
	v_dot2c_f32_f16_e32 v39, v12, v4
	v_dot2c_f32_f16_e32 v37, v12, v5
	;; [unrolled: 1-line block ×16, first 2 shown]
	ds_read_b128 v[4:7], v99 offset:25088
	v_dot2c_f32_f16_e32 v42, v12, v8
	v_dot2c_f32_f16_e32 v41, v12, v9
	;; [unrolled: 1-line block ×16, first 2 shown]
	ds_read_b128 v[8:11], v99 offset:25344
	ds_read_b128 v[12:15], v98 offset:8960
	s_waitcnt lgkmcnt(2)
	v_dot2c_f32_f16_e32 v97, v0, v4
	v_dot2c_f32_f16_e32 v96, v0, v5
	;; [unrolled: 1-line block ×16, first 2 shown]
	s_waitcnt lgkmcnt(1)
	v_dot2c_f32_f16_e32 v93, v0, v8
	v_dot2c_f32_f16_e32 v92, v0, v9
	;; [unrolled: 1-line block ×16, first 2 shown]
	ds_read_b128 v[0:3], v98 offset:9216
	s_waitcnt lgkmcnt(1)
	v_dot2c_f32_f16_e32 v39, v12, v4
	v_dot2c_f32_f16_e32 v37, v12, v5
	;; [unrolled: 1-line block ×16, first 2 shown]
	ds_read_b128 v[4:7], v99 offset:25600
	v_dot2c_f32_f16_e32 v42, v12, v8
	v_dot2c_f32_f16_e32 v41, v12, v9
	;; [unrolled: 1-line block ×16, first 2 shown]
	ds_read_b128 v[8:11], v99 offset:25856
	ds_read_b128 v[12:15], v98 offset:9472
	s_waitcnt lgkmcnt(2)
	v_dot2c_f32_f16_e32 v97, v0, v4
	v_dot2c_f32_f16_e32 v96, v0, v5
	;; [unrolled: 1-line block ×16, first 2 shown]
	s_waitcnt lgkmcnt(1)
	v_dot2c_f32_f16_e32 v93, v0, v8
	v_dot2c_f32_f16_e32 v92, v0, v9
	v_dot2c_f32_f16_e32 v91, v0, v10
	v_dot2c_f32_f16_e32 v90, v0, v11
	v_dot2c_f32_f16_e32 v89, v1, v8
	v_dot2c_f32_f16_e32 v88, v1, v9
	v_dot2c_f32_f16_e32 v87, v1, v10
	v_dot2c_f32_f16_e32 v86, v1, v11
	v_dot2c_f32_f16_e32 v69, v2, v8
	v_dot2c_f32_f16_e32 v68, v2, v9
	v_dot2c_f32_f16_e32 v67, v2, v10
	v_dot2c_f32_f16_e32 v65, v2, v11
	v_dot2c_f32_f16_e32 v59, v3, v8
	v_dot2c_f32_f16_e32 v58, v3, v9
	v_dot2c_f32_f16_e32 v57, v3, v10
	v_dot2c_f32_f16_e32 v55, v3, v11
	ds_read_b128 v[0:3], v98 offset:9728
	s_waitcnt lgkmcnt(1)
	v_dot2c_f32_f16_e32 v39, v12, v4
	v_dot2c_f32_f16_e32 v37, v12, v5
	;; [unrolled: 1-line block ×16, first 2 shown]
	ds_read_b128 v[4:7], v99 offset:26112
	v_dot2c_f32_f16_e32 v42, v12, v8
	v_dot2c_f32_f16_e32 v41, v12, v9
	;; [unrolled: 1-line block ×16, first 2 shown]
	ds_read_b128 v[8:11], v99 offset:26368
	ds_read_b128 v[12:15], v98 offset:9984
	s_waitcnt lgkmcnt(2)
	v_dot2c_f32_f16_e32 v97, v0, v4
	v_dot2c_f32_f16_e32 v96, v0, v5
	;; [unrolled: 1-line block ×16, first 2 shown]
	s_waitcnt lgkmcnt(1)
	v_dot2c_f32_f16_e32 v93, v0, v8
	v_dot2c_f32_f16_e32 v92, v0, v9
	;; [unrolled: 1-line block ×16, first 2 shown]
	ds_read_b128 v[0:3], v98 offset:10240
	s_waitcnt lgkmcnt(1)
	v_dot2c_f32_f16_e32 v39, v12, v4
	v_dot2c_f32_f16_e32 v37, v12, v5
	;; [unrolled: 1-line block ×16, first 2 shown]
	ds_read_b128 v[4:7], v99 offset:26624
	v_dot2c_f32_f16_e32 v42, v12, v8
	v_dot2c_f32_f16_e32 v41, v12, v9
	;; [unrolled: 1-line block ×16, first 2 shown]
	ds_read_b128 v[8:11], v99 offset:26880
	ds_read_b128 v[12:15], v98 offset:10496
	s_waitcnt lgkmcnt(2)
	v_dot2c_f32_f16_e32 v97, v0, v4
	v_dot2c_f32_f16_e32 v96, v0, v5
	v_dot2c_f32_f16_e32 v95, v0, v6
	v_dot2c_f32_f16_e32 v94, v0, v7
	v_dot2c_f32_f16_e32 v85, v1, v4
	v_dot2c_f32_f16_e32 v84, v1, v5
	v_dot2c_f32_f16_e32 v83, v1, v6
	v_dot2c_f32_f16_e32 v82, v1, v7
	v_dot2c_f32_f16_e32 v75, v2, v4
	v_dot2c_f32_f16_e32 v73, v2, v5
	v_dot2c_f32_f16_e32 v72, v2, v6
	v_dot2c_f32_f16_e32 v70, v2, v7
	v_dot2c_f32_f16_e32 v53, v3, v4
	v_dot2c_f32_f16_e32 v52, v3, v5
	v_dot2c_f32_f16_e32 v51, v3, v6
	v_dot2c_f32_f16_e32 v50, v3, v7
	s_waitcnt lgkmcnt(1)
	v_dot2c_f32_f16_e32 v93, v0, v8
	v_dot2c_f32_f16_e32 v92, v0, v9
	;; [unrolled: 1-line block ×16, first 2 shown]
	ds_read_b128 v[0:3], v98 offset:10752
	s_waitcnt lgkmcnt(1)
	v_dot2c_f32_f16_e32 v39, v12, v4
	v_dot2c_f32_f16_e32 v37, v12, v5
	;; [unrolled: 1-line block ×16, first 2 shown]
	ds_read_b128 v[4:7], v99 offset:27136
	v_dot2c_f32_f16_e32 v42, v12, v8
	v_dot2c_f32_f16_e32 v41, v12, v9
	v_dot2c_f32_f16_e32 v40, v12, v10
	v_dot2c_f32_f16_e32 v38, v12, v11
	v_dot2c_f32_f16_e32 v32, v13, v8
	v_dot2c_f32_f16_e32 v47, v13, v9
	v_dot2c_f32_f16_e32 v48, v13, v10
	v_dot2c_f32_f16_e32 v49, v13, v11
	v_dot2c_f32_f16_e32 v62, v14, v8
	v_dot2c_f32_f16_e32 v63, v14, v9
	v_dot2c_f32_f16_e32 v64, v14, v10
	v_dot2c_f32_f16_e32 v66, v14, v11
	v_dot2c_f32_f16_e32 v71, v15, v8
	v_dot2c_f32_f16_e32 v74, v15, v9
	v_dot2c_f32_f16_e32 v77, v15, v10
	v_dot2c_f32_f16_e32 v79, v15, v11
	ds_read_b128 v[8:11], v99 offset:27392
	ds_read_b128 v[12:15], v98 offset:11008
	s_waitcnt lgkmcnt(2)
	v_dot2c_f32_f16_e32 v97, v0, v4
	v_dot2c_f32_f16_e32 v96, v0, v5
	;; [unrolled: 1-line block ×16, first 2 shown]
	s_waitcnt lgkmcnt(1)
	v_dot2c_f32_f16_e32 v93, v0, v8
	v_dot2c_f32_f16_e32 v92, v0, v9
	;; [unrolled: 1-line block ×16, first 2 shown]
	ds_read_b128 v[0:3], v98 offset:11264
	s_waitcnt lgkmcnt(1)
	v_dot2c_f32_f16_e32 v39, v12, v4
	v_dot2c_f32_f16_e32 v37, v12, v5
	;; [unrolled: 1-line block ×16, first 2 shown]
	ds_read_b128 v[4:7], v99 offset:27648
	v_dot2c_f32_f16_e32 v42, v12, v8
	v_dot2c_f32_f16_e32 v41, v12, v9
	;; [unrolled: 1-line block ×16, first 2 shown]
	ds_read_b128 v[8:11], v99 offset:27904
	ds_read_b128 v[12:15], v98 offset:11520
	s_waitcnt lgkmcnt(2)
	v_dot2c_f32_f16_e32 v97, v0, v4
	v_dot2c_f32_f16_e32 v96, v0, v5
	;; [unrolled: 1-line block ×16, first 2 shown]
	s_waitcnt lgkmcnt(1)
	v_dot2c_f32_f16_e32 v93, v0, v8
	v_dot2c_f32_f16_e32 v92, v0, v9
	;; [unrolled: 1-line block ×16, first 2 shown]
	ds_read_b128 v[0:3], v98 offset:11776
	s_waitcnt lgkmcnt(1)
	v_dot2c_f32_f16_e32 v39, v12, v4
	v_dot2c_f32_f16_e32 v37, v12, v5
	;; [unrolled: 1-line block ×16, first 2 shown]
	ds_read_b128 v[4:7], v99 offset:28160
	v_dot2c_f32_f16_e32 v42, v12, v8
	v_dot2c_f32_f16_e32 v41, v12, v9
	;; [unrolled: 1-line block ×16, first 2 shown]
	ds_read_b128 v[8:11], v99 offset:28416
	ds_read_b128 v[12:15], v98 offset:12032
	s_waitcnt lgkmcnt(2)
	v_dot2c_f32_f16_e32 v97, v0, v4
	v_dot2c_f32_f16_e32 v96, v0, v5
	;; [unrolled: 1-line block ×16, first 2 shown]
	s_waitcnt lgkmcnt(1)
	v_dot2c_f32_f16_e32 v93, v0, v8
	v_dot2c_f32_f16_e32 v92, v0, v9
	;; [unrolled: 1-line block ×16, first 2 shown]
	ds_read_b128 v[0:3], v98 offset:12288
	s_waitcnt lgkmcnt(1)
	v_dot2c_f32_f16_e32 v39, v12, v4
	v_dot2c_f32_f16_e32 v37, v12, v5
	;; [unrolled: 1-line block ×16, first 2 shown]
	ds_read_b128 v[4:7], v99 offset:28672
	v_dot2c_f32_f16_e32 v42, v12, v8
	v_dot2c_f32_f16_e32 v41, v12, v9
	;; [unrolled: 1-line block ×16, first 2 shown]
	ds_read_b128 v[8:11], v99 offset:28928
	ds_read_b128 v[12:15], v98 offset:12544
	s_waitcnt lgkmcnt(2)
	v_dot2c_f32_f16_e32 v97, v0, v4
	v_dot2c_f32_f16_e32 v96, v0, v5
	;; [unrolled: 1-line block ×16, first 2 shown]
	s_waitcnt lgkmcnt(1)
	v_dot2c_f32_f16_e32 v93, v0, v8
	v_dot2c_f32_f16_e32 v92, v0, v9
	;; [unrolled: 1-line block ×16, first 2 shown]
	ds_read_b128 v[0:3], v98 offset:12800
	s_waitcnt lgkmcnt(1)
	v_dot2c_f32_f16_e32 v39, v12, v4
	v_dot2c_f32_f16_e32 v37, v12, v5
	;; [unrolled: 1-line block ×16, first 2 shown]
	ds_read_b128 v[4:7], v99 offset:29184
	v_dot2c_f32_f16_e32 v42, v12, v8
	v_dot2c_f32_f16_e32 v41, v12, v9
	;; [unrolled: 1-line block ×16, first 2 shown]
	ds_read_b128 v[8:11], v99 offset:29440
	ds_read_b128 v[12:15], v98 offset:13056
	s_waitcnt lgkmcnt(2)
	v_dot2c_f32_f16_e32 v97, v0, v4
	v_dot2c_f32_f16_e32 v96, v0, v5
	v_dot2c_f32_f16_e32 v95, v0, v6
	v_dot2c_f32_f16_e32 v94, v0, v7
	v_dot2c_f32_f16_e32 v85, v1, v4
	v_dot2c_f32_f16_e32 v84, v1, v5
	v_dot2c_f32_f16_e32 v83, v1, v6
	v_dot2c_f32_f16_e32 v82, v1, v7
	v_dot2c_f32_f16_e32 v75, v2, v4
	v_dot2c_f32_f16_e32 v73, v2, v5
	v_dot2c_f32_f16_e32 v72, v2, v6
	v_dot2c_f32_f16_e32 v70, v2, v7
	v_dot2c_f32_f16_e32 v53, v3, v4
	v_dot2c_f32_f16_e32 v52, v3, v5
	v_dot2c_f32_f16_e32 v51, v3, v6
	v_dot2c_f32_f16_e32 v50, v3, v7
	s_waitcnt lgkmcnt(1)
	v_dot2c_f32_f16_e32 v93, v0, v8
	v_dot2c_f32_f16_e32 v92, v0, v9
	v_dot2c_f32_f16_e32 v91, v0, v10
	v_dot2c_f32_f16_e32 v90, v0, v11
	v_dot2c_f32_f16_e32 v89, v1, v8
	v_dot2c_f32_f16_e32 v88, v1, v9
	v_dot2c_f32_f16_e32 v87, v1, v10
	v_dot2c_f32_f16_e32 v86, v1, v11
	v_dot2c_f32_f16_e32 v69, v2, v8
	v_dot2c_f32_f16_e32 v68, v2, v9
	v_dot2c_f32_f16_e32 v67, v2, v10
	v_dot2c_f32_f16_e32 v65, v2, v11
	v_dot2c_f32_f16_e32 v59, v3, v8
	v_dot2c_f32_f16_e32 v58, v3, v9
	v_dot2c_f32_f16_e32 v57, v3, v10
	v_dot2c_f32_f16_e32 v55, v3, v11
	ds_read_b128 v[0:3], v98 offset:13312
	s_waitcnt lgkmcnt(1)
	v_dot2c_f32_f16_e32 v39, v12, v4
	v_dot2c_f32_f16_e32 v37, v12, v5
	v_dot2c_f32_f16_e32 v36, v12, v6
	v_dot2c_f32_f16_e32 v35, v12, v7
	v_dot2c_f32_f16_e32 v46, v13, v4
	v_dot2c_f32_f16_e32 v45, v13, v5
	v_dot2c_f32_f16_e32 v44, v13, v6
	v_dot2c_f32_f16_e32 v43, v13, v7
	v_dot2c_f32_f16_e32 v54, v14, v4
	v_dot2c_f32_f16_e32 v56, v14, v5
	v_dot2c_f32_f16_e32 v60, v14, v6
	v_dot2c_f32_f16_e32 v61, v14, v7
	v_dot2c_f32_f16_e32 v76, v15, v4
	v_dot2c_f32_f16_e32 v78, v15, v5
	v_dot2c_f32_f16_e32 v80, v15, v6
	v_dot2c_f32_f16_e32 v81, v15, v7
	ds_read_b128 v[4:7], v99 offset:29696
	v_dot2c_f32_f16_e32 v42, v12, v8
	v_dot2c_f32_f16_e32 v41, v12, v9
	;; [unrolled: 1-line block ×16, first 2 shown]
	ds_read_b128 v[8:11], v99 offset:29952
	ds_read_b128 v[12:15], v98 offset:13568
	s_waitcnt lgkmcnt(2)
	v_dot2c_f32_f16_e32 v97, v0, v4
	v_dot2c_f32_f16_e32 v96, v0, v5
	;; [unrolled: 1-line block ×16, first 2 shown]
	s_waitcnt lgkmcnt(1)
	v_dot2c_f32_f16_e32 v93, v0, v8
	v_dot2c_f32_f16_e32 v92, v0, v9
	;; [unrolled: 1-line block ×16, first 2 shown]
	ds_read_b128 v[0:3], v98 offset:13824
	s_waitcnt lgkmcnt(1)
	v_dot2c_f32_f16_e32 v39, v12, v4
	v_dot2c_f32_f16_e32 v37, v12, v5
	v_dot2c_f32_f16_e32 v36, v12, v6
	v_dot2c_f32_f16_e32 v35, v12, v7
	v_dot2c_f32_f16_e32 v46, v13, v4
	v_dot2c_f32_f16_e32 v45, v13, v5
	v_dot2c_f32_f16_e32 v44, v13, v6
	v_dot2c_f32_f16_e32 v43, v13, v7
	v_dot2c_f32_f16_e32 v54, v14, v4
	v_dot2c_f32_f16_e32 v56, v14, v5
	v_dot2c_f32_f16_e32 v60, v14, v6
	v_dot2c_f32_f16_e32 v61, v14, v7
	v_dot2c_f32_f16_e32 v76, v15, v4
	v_dot2c_f32_f16_e32 v78, v15, v5
	v_dot2c_f32_f16_e32 v80, v15, v6
	v_dot2c_f32_f16_e32 v81, v15, v7
	ds_read_b128 v[4:7], v99 offset:30208
	v_dot2c_f32_f16_e32 v42, v12, v8
	v_dot2c_f32_f16_e32 v41, v12, v9
	;; [unrolled: 1-line block ×16, first 2 shown]
	ds_read_b128 v[8:11], v99 offset:30464
	ds_read_b128 v[12:15], v98 offset:14080
	s_waitcnt lgkmcnt(2)
	v_dot2c_f32_f16_e32 v97, v0, v4
	v_dot2c_f32_f16_e32 v96, v0, v5
	;; [unrolled: 1-line block ×16, first 2 shown]
	s_waitcnt lgkmcnt(1)
	v_dot2c_f32_f16_e32 v93, v0, v8
	v_dot2c_f32_f16_e32 v92, v0, v9
	;; [unrolled: 1-line block ×16, first 2 shown]
	ds_read_b128 v[0:3], v98 offset:14336
	s_waitcnt lgkmcnt(1)
	v_dot2c_f32_f16_e32 v39, v12, v4
	v_dot2c_f32_f16_e32 v37, v12, v5
	;; [unrolled: 1-line block ×16, first 2 shown]
	ds_read_b128 v[4:7], v99 offset:30720
	v_dot2c_f32_f16_e32 v42, v12, v8
	v_dot2c_f32_f16_e32 v41, v12, v9
	;; [unrolled: 1-line block ×16, first 2 shown]
	ds_read_b128 v[8:11], v99 offset:30976
	ds_read_b128 v[12:15], v98 offset:14592
	s_waitcnt lgkmcnt(2)
	v_dot2c_f32_f16_e32 v97, v0, v4
	v_dot2c_f32_f16_e32 v96, v0, v5
	;; [unrolled: 1-line block ×16, first 2 shown]
	s_waitcnt lgkmcnt(1)
	v_dot2c_f32_f16_e32 v93, v0, v8
	v_dot2c_f32_f16_e32 v92, v0, v9
	;; [unrolled: 1-line block ×16, first 2 shown]
	ds_read_b128 v[0:3], v98 offset:14848
	s_waitcnt lgkmcnt(1)
	v_dot2c_f32_f16_e32 v39, v12, v4
	v_dot2c_f32_f16_e32 v37, v12, v5
	;; [unrolled: 1-line block ×16, first 2 shown]
	ds_read_b128 v[4:7], v99 offset:31232
	v_dot2c_f32_f16_e32 v42, v12, v8
	v_dot2c_f32_f16_e32 v41, v12, v9
	v_dot2c_f32_f16_e32 v40, v12, v10
	v_dot2c_f32_f16_e32 v38, v12, v11
	v_dot2c_f32_f16_e32 v32, v13, v8
	v_dot2c_f32_f16_e32 v47, v13, v9
	v_dot2c_f32_f16_e32 v48, v13, v10
	v_dot2c_f32_f16_e32 v49, v13, v11
	v_dot2c_f32_f16_e32 v62, v14, v8
	v_dot2c_f32_f16_e32 v63, v14, v9
	v_dot2c_f32_f16_e32 v64, v14, v10
	v_dot2c_f32_f16_e32 v66, v14, v11
	v_dot2c_f32_f16_e32 v71, v15, v8
	v_dot2c_f32_f16_e32 v74, v15, v9
	v_dot2c_f32_f16_e32 v77, v15, v10
	v_dot2c_f32_f16_e32 v79, v15, v11
	ds_read_b128 v[8:11], v99 offset:31488
	ds_read_b128 v[12:15], v98 offset:15104
	s_waitcnt lgkmcnt(2)
	v_dot2c_f32_f16_e32 v97, v0, v4
	v_dot2c_f32_f16_e32 v96, v0, v5
	v_dot2c_f32_f16_e32 v95, v0, v6
	v_dot2c_f32_f16_e32 v94, v0, v7
	v_dot2c_f32_f16_e32 v85, v1, v4
	v_dot2c_f32_f16_e32 v84, v1, v5
	v_dot2c_f32_f16_e32 v83, v1, v6
	v_dot2c_f32_f16_e32 v82, v1, v7
	v_dot2c_f32_f16_e32 v75, v2, v4
	v_dot2c_f32_f16_e32 v73, v2, v5
	v_dot2c_f32_f16_e32 v72, v2, v6
	v_dot2c_f32_f16_e32 v70, v2, v7
	v_dot2c_f32_f16_e32 v53, v3, v4
	v_dot2c_f32_f16_e32 v52, v3, v5
	v_dot2c_f32_f16_e32 v51, v3, v6
	v_dot2c_f32_f16_e32 v50, v3, v7
	s_waitcnt lgkmcnt(1)
	v_dot2c_f32_f16_e32 v93, v0, v8
	v_dot2c_f32_f16_e32 v92, v0, v9
	;; [unrolled: 1-line block ×16, first 2 shown]
	ds_read_b128 v[0:3], v98 offset:15360
	s_waitcnt lgkmcnt(1)
	v_dot2c_f32_f16_e32 v39, v12, v4
	v_dot2c_f32_f16_e32 v37, v12, v5
	;; [unrolled: 1-line block ×16, first 2 shown]
	ds_read_b128 v[4:7], v99 offset:31744
	v_dot2c_f32_f16_e32 v42, v12, v8
	v_dot2c_f32_f16_e32 v41, v12, v9
	;; [unrolled: 1-line block ×16, first 2 shown]
	ds_read_b128 v[8:11], v99 offset:32000
	ds_read_b128 v[12:15], v98 offset:15616
	s_waitcnt lgkmcnt(2)
	v_dot2c_f32_f16_e32 v97, v0, v4
	v_dot2c_f32_f16_e32 v96, v0, v5
	v_dot2c_f32_f16_e32 v95, v0, v6
	v_dot2c_f32_f16_e32 v94, v0, v7
	v_dot2c_f32_f16_e32 v85, v1, v4
	v_dot2c_f32_f16_e32 v84, v1, v5
	v_dot2c_f32_f16_e32 v83, v1, v6
	v_dot2c_f32_f16_e32 v82, v1, v7
	v_dot2c_f32_f16_e32 v75, v2, v4
	v_dot2c_f32_f16_e32 v73, v2, v5
	v_dot2c_f32_f16_e32 v72, v2, v6
	v_dot2c_f32_f16_e32 v70, v2, v7
	v_dot2c_f32_f16_e32 v53, v3, v4
	v_dot2c_f32_f16_e32 v52, v3, v5
	v_dot2c_f32_f16_e32 v51, v3, v6
	v_dot2c_f32_f16_e32 v50, v3, v7
	s_waitcnt lgkmcnt(1)
	v_dot2c_f32_f16_e32 v93, v0, v8
	v_dot2c_f32_f16_e32 v92, v0, v9
	;; [unrolled: 1-line block ×16, first 2 shown]
	ds_read_b128 v[0:3], v98 offset:15872
	s_waitcnt lgkmcnt(1)
	v_dot2c_f32_f16_e32 v39, v12, v4
	v_dot2c_f32_f16_e32 v37, v12, v5
	;; [unrolled: 1-line block ×16, first 2 shown]
	ds_read_b128 v[4:7], v99 offset:32256
	v_dot2c_f32_f16_e32 v42, v12, v8
	v_dot2c_f32_f16_e32 v41, v12, v9
	;; [unrolled: 1-line block ×16, first 2 shown]
	ds_read_b128 v[8:11], v99 offset:32512
	ds_read_b128 v[12:15], v98 offset:16128
	s_waitcnt lgkmcnt(2)
	v_dot2c_f32_f16_e32 v97, v0, v4
	v_dot2c_f32_f16_e32 v96, v0, v5
	;; [unrolled: 1-line block ×4, first 2 shown]
	s_waitcnt lgkmcnt(1)
	v_dot2c_f32_f16_e32 v93, v0, v8
	v_dot2c_f32_f16_e32 v92, v0, v9
	;; [unrolled: 1-line block ×4, first 2 shown]
	v_add_u32_e32 v0, s7, v34
	v_mul_lo_u32 v0, v0, s16
	v_dot2c_f32_f16_e32 v75, v2, v4
	v_dot2c_f32_f16_e32 v73, v2, v5
	;; [unrolled: 1-line block ×8, first 2 shown]
	v_add3_u32 v2, s17, v33, v0
	v_dot2c_f32_f16_e32 v85, v1, v4
	v_dot2c_f32_f16_e32 v84, v1, v5
	v_dot2c_f32_f16_e32 v83, v1, v6
	v_dot2c_f32_f16_e32 v82, v1, v7
	v_dot2c_f32_f16_e32 v53, v3, v4
	v_dot2c_f32_f16_e32 v52, v3, v5
	v_dot2c_f32_f16_e32 v51, v3, v6
	v_dot2c_f32_f16_e32 v50, v3, v7
	v_dot2c_f32_f16_e32 v89, v1, v8
	v_dot2c_f32_f16_e32 v88, v1, v9
	v_dot2c_f32_f16_e32 v87, v1, v10
	v_dot2c_f32_f16_e32 v86, v1, v11
	v_dot2c_f32_f16_e32 v59, v3, v8
	v_dot2c_f32_f16_e32 v58, v3, v9
	v_dot2c_f32_f16_e32 v57, v3, v10
	v_dot2c_f32_f16_e32 v55, v3, v11
	v_cvt_pk_f16_f32 v1, v95, v94
	v_cvt_pk_f16_f32 v0, v97, v96
	s_lshl_b32 s6, s6, 1
	s_and_b32 s5, s5, 0xffff
	s_mov_b32 s7, 0x20000
	v_lshlrev_b32_e32 v3, 1, v2
	buffer_store_dwordx2 v[0:1], v3, s[4:7], 0 offen
	v_add_u32_e32 v3, 64, v2
	s_waitcnt lgkmcnt(0)
	v_dot2c_f32_f16_e32 v39, v12, v4
	v_dot2c_f32_f16_e32 v46, v13, v4
	v_dot2c_f32_f16_e32 v54, v14, v4
	v_dot2c_f32_f16_e32 v76, v15, v4
	v_cvt_pk_f16_f32 v1, v91, v90
	v_cvt_pk_f16_f32 v0, v93, v92
	v_lshlrev_b32_e32 v4, 1, v3
	buffer_store_dwordx2 v[0:1], v4, s[4:7], 0 offen
	v_cvt_pk_f16_f32 v1, v87, v86
	v_cvt_pk_f16_f32 v0, v89, v88
	v_add_lshl_u32 v3, v3, s16, 1
	v_add_u32_e32 v2, s16, v2
	buffer_store_dwordx2 v[0:1], v3, s[4:7], 0 offen
	v_cvt_pk_f16_f32 v1, v83, v82
	v_cvt_pk_f16_f32 v0, v85, v84
	v_lshlrev_b32_e32 v3, 1, v2
	v_add_u32_e32 v2, s16, v2
	buffer_store_dwordx2 v[0:1], v3, s[4:7], 0 offen
	v_cvt_pk_f16_f32 v1, v72, v70
	v_cvt_pk_f16_f32 v0, v75, v73
	v_lshlrev_b32_e32 v3, 1, v2
	buffer_store_dwordx2 v[0:1], v3, s[4:7], 0 offen
	v_add_u32_e32 v3, 64, v2
	v_cvt_pk_f16_f32 v1, v67, v65
	v_cvt_pk_f16_f32 v0, v69, v68
	v_lshlrev_b32_e32 v4, 1, v3
	buffer_store_dwordx2 v[0:1], v4, s[4:7], 0 offen
	v_cvt_pk_f16_f32 v1, v57, v55
	v_cvt_pk_f16_f32 v0, v59, v58
	v_add_lshl_u32 v3, v3, s16, 1
	v_add_u32_e32 v2, s16, v2
	v_dot2c_f32_f16_e32 v78, v15, v5
	v_dot2c_f32_f16_e32 v80, v15, v6
	v_dot2c_f32_f16_e32 v81, v15, v7
	buffer_store_dwordx2 v[0:1], v3, s[4:7], 0 offen
	v_cvt_pk_f16_f32 v1, v51, v50
	v_cvt_pk_f16_f32 v0, v53, v52
	v_lshlrev_b32_e32 v3, 1, v2
	v_lshl_add_u32 v2, s16, 6, v2
	v_dot2c_f32_f16_e32 v71, v15, v8
	v_dot2c_f32_f16_e32 v74, v15, v9
	;; [unrolled: 1-line block ×4, first 2 shown]
	buffer_store_dwordx2 v[0:1], v3, s[4:7], 0 offen
	v_cvt_pk_f16_f32 v1, v80, v81
	v_cvt_pk_f16_f32 v0, v76, v78
	v_lshlrev_b32_e32 v3, 1, v2
	v_add_u32_e32 v2, 64, v2
	v_dot2c_f32_f16_e32 v62, v14, v8
	v_dot2c_f32_f16_e32 v63, v14, v9
	v_dot2c_f32_f16_e32 v64, v14, v10
	v_dot2c_f32_f16_e32 v66, v14, v11
	buffer_store_dwordx2 v[0:1], v3, s[4:7], 0 offen
	v_cvt_pk_f16_f32 v1, v77, v79
	v_cvt_pk_f16_f32 v0, v71, v74
	v_lshlrev_b32_e32 v3, 1, v2
	v_subrev_u32_e32 v2, s16, v2
	v_dot2c_f32_f16_e32 v56, v14, v5
	v_dot2c_f32_f16_e32 v60, v14, v6
	v_dot2c_f32_f16_e32 v61, v14, v7
	buffer_store_dwordx2 v[0:1], v3, s[4:7], 0 offen
	v_cvt_pk_f16_f32 v1, v64, v66
	v_cvt_pk_f16_f32 v0, v62, v63
	v_lshlrev_b32_e32 v3, 1, v2
	v_subrev_u32_e32 v2, 64, v2
	v_dot2c_f32_f16_e32 v45, v13, v5
	v_dot2c_f32_f16_e32 v44, v13, v6
	v_dot2c_f32_f16_e32 v43, v13, v7
	;; [unrolled: 8-line block ×3, first 2 shown]
	v_dot2c_f32_f16_e32 v49, v13, v11
	buffer_store_dwordx2 v[0:1], v3, s[4:7], 0 offen
	v_cvt_pk_f16_f32 v1, v44, v43
	v_cvt_pk_f16_f32 v0, v46, v45
	v_lshlrev_b32_e32 v3, 1, v2
	v_add_u32_e32 v2, 64, v2
	v_dot2c_f32_f16_e32 v42, v12, v8
	v_dot2c_f32_f16_e32 v41, v12, v9
	;; [unrolled: 1-line block ×4, first 2 shown]
	buffer_store_dwordx2 v[0:1], v3, s[4:7], 0 offen
	v_cvt_pk_f16_f32 v1, v48, v49
	v_cvt_pk_f16_f32 v0, v32, v47
	v_lshlrev_b32_e32 v3, 1, v2
	v_subrev_u32_e32 v2, s16, v2
	v_dot2c_f32_f16_e32 v37, v12, v5
	v_dot2c_f32_f16_e32 v36, v12, v6
	;; [unrolled: 1-line block ×3, first 2 shown]
	buffer_store_dwordx2 v[0:1], v3, s[4:7], 0 offen
	v_cvt_pk_f16_f32 v1, v40, v38
	v_cvt_pk_f16_f32 v0, v42, v41
	v_lshlrev_b32_e32 v2, 1, v2
	buffer_store_dwordx2 v[0:1], v2, s[4:7], 0 offen
	v_cvt_pk_f16_f32 v1, v36, v35
	v_cvt_pk_f16_f32 v0, v39, v37
	v_add_u32_e32 v2, 0xffffff80, v2
	buffer_store_dwordx2 v[0:1], v2, s[4:7], 0 offen
	s_endpgm
	.section	.rodata,"a",@progbits
	.p2align	6, 0x0
	.amdhsa_kernel _ZN2ck19kernel_gemm_dl_v1r3INS_28GridwiseGemmDl_km_kn_mn_v1r3ILi256EDF16_fDF16_LNS_25InMemoryDataOperationEnumE0ENS_16TensorDescriptorINS_5TupleIJNS_5EmbedINS4_IJiiEEENS4_IJNS_17integral_constantIiLi1EEEiEEELb0EEENS_7UnMergeINS4_IJiNS7_IiLi2EEEEEELb0EEENS_11PassThroughIiEEEEENS4_IJNS_8SequenceIJLi0EEEENSI_IJLi2EEEENSI_IJLi1EEEEEEENS4_IJNSI_IJLi1ELi2EEEENSI_IJLi3ELi4EEEENSI_IJLi5EEEEEEENSI_IJLi3ELi5ELi4EEEElEENS3_INS4_IJNS5_IS6_NS4_IJiS8_EEELb0EEESE_SG_EEENS4_IJSJ_SL_SK_EEESQ_SR_lEENS3_INS4_IJSU_SG_SG_EEESW_NS4_IJSN_NSI_IJLi3EEEENSI_IJLi4EEEEEEESO_lEELi128ELi128ELi16ELi2ELi4ELi4ELi1ENSI_IJLi8ELi2EEEES13_NSI_IJLi2ELi1ELi4ELi2EEEENSI_IJLi8ELi1ELi32ELi1EEEENSI_IJLi0ELi3ELi1ELi2EEEES16_NSI_IJLi1ELi1ELi4ELi1EEEES16_NSI_IJLi1ELi1ELi4ELi2EEEES14_S15_S16_S16_S17_S16_S18_NSI_IJLi0ELi1ELi2ELi3ELi4ELi5EEEELi5ELi4EEEDF16_DF16_NS3_INS4_IJSA_SE_SG_SG_NSB_INS4_IJiNS7_IiLi128EEEEEELb0EEENSF_ISC_EEEEENS4_IJSJ_SK_SL_SZ_SP_S10_EEENS4_IJSN_SO_SP_NSI_IJLi6EEEENSI_IJLi7ELi8EEEENSI_IJLi9EEEEEEENSI_IJLi6ELi7ELi8ELi9EEEElEENS3_INS4_IJSU_SE_SG_SG_S1D_S1E_EEENS4_IJSJ_SL_SK_SZ_SP_S10_EEES1K_S1L_lEENS3_INS4_IJSU_SG_SG_NSB_INS4_IJiSC_NS7_IiLi64EEEEEELb0EEES1S_EEENS4_IJSJ_SL_SK_SZ_S10_EEENS4_IJSN_SZ_S10_NSI_IJLi5ELi6ELi7EEEENSI_IJLi8ELi9ELi10EEEEEEENSI_IJLi5ELi6ELi7ELi8ELi9ELi10EEEElEENS_31BlockToCTileMap_M00_N00_M01_N01ILi128ELi128ES12_Lb0EEELb1ELb1EEEvPKT0_S24_PT1_T2_T3_T4_T5_
		.amdhsa_group_segment_fixed_size 32768
		.amdhsa_private_segment_fixed_size 0
		.amdhsa_kernarg_size 328
		.amdhsa_user_sgpr_count 2
		.amdhsa_user_sgpr_dispatch_ptr 0
		.amdhsa_user_sgpr_queue_ptr 0
		.amdhsa_user_sgpr_kernarg_segment_ptr 1
		.amdhsa_user_sgpr_dispatch_id 0
		.amdhsa_user_sgpr_kernarg_preload_length 0
		.amdhsa_user_sgpr_kernarg_preload_offset 0
		.amdhsa_user_sgpr_private_segment_size 0
		.amdhsa_uses_dynamic_stack 0
		.amdhsa_enable_private_segment 0
		.amdhsa_system_sgpr_workgroup_id_x 1
		.amdhsa_system_sgpr_workgroup_id_y 0
		.amdhsa_system_sgpr_workgroup_id_z 0
		.amdhsa_system_sgpr_workgroup_info 0
		.amdhsa_system_vgpr_workitem_id 0
		.amdhsa_next_free_vgpr 110
		.amdhsa_next_free_sgpr 96
		.amdhsa_accum_offset 112
		.amdhsa_reserve_vcc 0
		.amdhsa_float_round_mode_32 0
		.amdhsa_float_round_mode_16_64 0
		.amdhsa_float_denorm_mode_32 3
		.amdhsa_float_denorm_mode_16_64 3
		.amdhsa_dx10_clamp 1
		.amdhsa_ieee_mode 1
		.amdhsa_fp16_overflow 0
		.amdhsa_tg_split 0
		.amdhsa_exception_fp_ieee_invalid_op 0
		.amdhsa_exception_fp_denorm_src 0
		.amdhsa_exception_fp_ieee_div_zero 0
		.amdhsa_exception_fp_ieee_overflow 0
		.amdhsa_exception_fp_ieee_underflow 0
		.amdhsa_exception_fp_ieee_inexact 0
		.amdhsa_exception_int_div_zero 0
	.end_amdhsa_kernel
	.section	.text._ZN2ck19kernel_gemm_dl_v1r3INS_28GridwiseGemmDl_km_kn_mn_v1r3ILi256EDF16_fDF16_LNS_25InMemoryDataOperationEnumE0ENS_16TensorDescriptorINS_5TupleIJNS_5EmbedINS4_IJiiEEENS4_IJNS_17integral_constantIiLi1EEEiEEELb0EEENS_7UnMergeINS4_IJiNS7_IiLi2EEEEEELb0EEENS_11PassThroughIiEEEEENS4_IJNS_8SequenceIJLi0EEEENSI_IJLi2EEEENSI_IJLi1EEEEEEENS4_IJNSI_IJLi1ELi2EEEENSI_IJLi3ELi4EEEENSI_IJLi5EEEEEEENSI_IJLi3ELi5ELi4EEEElEENS3_INS4_IJNS5_IS6_NS4_IJiS8_EEELb0EEESE_SG_EEENS4_IJSJ_SL_SK_EEESQ_SR_lEENS3_INS4_IJSU_SG_SG_EEESW_NS4_IJSN_NSI_IJLi3EEEENSI_IJLi4EEEEEEESO_lEELi128ELi128ELi16ELi2ELi4ELi4ELi1ENSI_IJLi8ELi2EEEES13_NSI_IJLi2ELi1ELi4ELi2EEEENSI_IJLi8ELi1ELi32ELi1EEEENSI_IJLi0ELi3ELi1ELi2EEEES16_NSI_IJLi1ELi1ELi4ELi1EEEES16_NSI_IJLi1ELi1ELi4ELi2EEEES14_S15_S16_S16_S17_S16_S18_NSI_IJLi0ELi1ELi2ELi3ELi4ELi5EEEELi5ELi4EEEDF16_DF16_NS3_INS4_IJSA_SE_SG_SG_NSB_INS4_IJiNS7_IiLi128EEEEEELb0EEENSF_ISC_EEEEENS4_IJSJ_SK_SL_SZ_SP_S10_EEENS4_IJSN_SO_SP_NSI_IJLi6EEEENSI_IJLi7ELi8EEEENSI_IJLi9EEEEEEENSI_IJLi6ELi7ELi8ELi9EEEElEENS3_INS4_IJSU_SE_SG_SG_S1D_S1E_EEENS4_IJSJ_SL_SK_SZ_SP_S10_EEES1K_S1L_lEENS3_INS4_IJSU_SG_SG_NSB_INS4_IJiSC_NS7_IiLi64EEEEEELb0EEES1S_EEENS4_IJSJ_SL_SK_SZ_S10_EEENS4_IJSN_SZ_S10_NSI_IJLi5ELi6ELi7EEEENSI_IJLi8ELi9ELi10EEEEEEENSI_IJLi5ELi6ELi7ELi8ELi9ELi10EEEElEENS_31BlockToCTileMap_M00_N00_M01_N01ILi128ELi128ES12_Lb0EEELb1ELb1EEEvPKT0_S24_PT1_T2_T3_T4_T5_,"axG",@progbits,_ZN2ck19kernel_gemm_dl_v1r3INS_28GridwiseGemmDl_km_kn_mn_v1r3ILi256EDF16_fDF16_LNS_25InMemoryDataOperationEnumE0ENS_16TensorDescriptorINS_5TupleIJNS_5EmbedINS4_IJiiEEENS4_IJNS_17integral_constantIiLi1EEEiEEELb0EEENS_7UnMergeINS4_IJiNS7_IiLi2EEEEEELb0EEENS_11PassThroughIiEEEEENS4_IJNS_8SequenceIJLi0EEEENSI_IJLi2EEEENSI_IJLi1EEEEEEENS4_IJNSI_IJLi1ELi2EEEENSI_IJLi3ELi4EEEENSI_IJLi5EEEEEEENSI_IJLi3ELi5ELi4EEEElEENS3_INS4_IJNS5_IS6_NS4_IJiS8_EEELb0EEESE_SG_EEENS4_IJSJ_SL_SK_EEESQ_SR_lEENS3_INS4_IJSU_SG_SG_EEESW_NS4_IJSN_NSI_IJLi3EEEENSI_IJLi4EEEEEEESO_lEELi128ELi128ELi16ELi2ELi4ELi4ELi1ENSI_IJLi8ELi2EEEES13_NSI_IJLi2ELi1ELi4ELi2EEEENSI_IJLi8ELi1ELi32ELi1EEEENSI_IJLi0ELi3ELi1ELi2EEEES16_NSI_IJLi1ELi1ELi4ELi1EEEES16_NSI_IJLi1ELi1ELi4ELi2EEEES14_S15_S16_S16_S17_S16_S18_NSI_IJLi0ELi1ELi2ELi3ELi4ELi5EEEELi5ELi4EEEDF16_DF16_NS3_INS4_IJSA_SE_SG_SG_NSB_INS4_IJiNS7_IiLi128EEEEEELb0EEENSF_ISC_EEEEENS4_IJSJ_SK_SL_SZ_SP_S10_EEENS4_IJSN_SO_SP_NSI_IJLi6EEEENSI_IJLi7ELi8EEEENSI_IJLi9EEEEEEENSI_IJLi6ELi7ELi8ELi9EEEElEENS3_INS4_IJSU_SE_SG_SG_S1D_S1E_EEENS4_IJSJ_SL_SK_SZ_SP_S10_EEES1K_S1L_lEENS3_INS4_IJSU_SG_SG_NSB_INS4_IJiSC_NS7_IiLi64EEEEEELb0EEES1S_EEENS4_IJSJ_SL_SK_SZ_S10_EEENS4_IJSN_SZ_S10_NSI_IJLi5ELi6ELi7EEEENSI_IJLi8ELi9ELi10EEEEEEENSI_IJLi5ELi6ELi7ELi8ELi9ELi10EEEElEENS_31BlockToCTileMap_M00_N00_M01_N01ILi128ELi128ES12_Lb0EEELb1ELb1EEEvPKT0_S24_PT1_T2_T3_T4_T5_,comdat
.Lfunc_end1:
	.size	_ZN2ck19kernel_gemm_dl_v1r3INS_28GridwiseGemmDl_km_kn_mn_v1r3ILi256EDF16_fDF16_LNS_25InMemoryDataOperationEnumE0ENS_16TensorDescriptorINS_5TupleIJNS_5EmbedINS4_IJiiEEENS4_IJNS_17integral_constantIiLi1EEEiEEELb0EEENS_7UnMergeINS4_IJiNS7_IiLi2EEEEEELb0EEENS_11PassThroughIiEEEEENS4_IJNS_8SequenceIJLi0EEEENSI_IJLi2EEEENSI_IJLi1EEEEEEENS4_IJNSI_IJLi1ELi2EEEENSI_IJLi3ELi4EEEENSI_IJLi5EEEEEEENSI_IJLi3ELi5ELi4EEEElEENS3_INS4_IJNS5_IS6_NS4_IJiS8_EEELb0EEESE_SG_EEENS4_IJSJ_SL_SK_EEESQ_SR_lEENS3_INS4_IJSU_SG_SG_EEESW_NS4_IJSN_NSI_IJLi3EEEENSI_IJLi4EEEEEEESO_lEELi128ELi128ELi16ELi2ELi4ELi4ELi1ENSI_IJLi8ELi2EEEES13_NSI_IJLi2ELi1ELi4ELi2EEEENSI_IJLi8ELi1ELi32ELi1EEEENSI_IJLi0ELi3ELi1ELi2EEEES16_NSI_IJLi1ELi1ELi4ELi1EEEES16_NSI_IJLi1ELi1ELi4ELi2EEEES14_S15_S16_S16_S17_S16_S18_NSI_IJLi0ELi1ELi2ELi3ELi4ELi5EEEELi5ELi4EEEDF16_DF16_NS3_INS4_IJSA_SE_SG_SG_NSB_INS4_IJiNS7_IiLi128EEEEEELb0EEENSF_ISC_EEEEENS4_IJSJ_SK_SL_SZ_SP_S10_EEENS4_IJSN_SO_SP_NSI_IJLi6EEEENSI_IJLi7ELi8EEEENSI_IJLi9EEEEEEENSI_IJLi6ELi7ELi8ELi9EEEElEENS3_INS4_IJSU_SE_SG_SG_S1D_S1E_EEENS4_IJSJ_SL_SK_SZ_SP_S10_EEES1K_S1L_lEENS3_INS4_IJSU_SG_SG_NSB_INS4_IJiSC_NS7_IiLi64EEEEEELb0EEES1S_EEENS4_IJSJ_SL_SK_SZ_S10_EEENS4_IJSN_SZ_S10_NSI_IJLi5ELi6ELi7EEEENSI_IJLi8ELi9ELi10EEEEEEENSI_IJLi5ELi6ELi7ELi8ELi9ELi10EEEElEENS_31BlockToCTileMap_M00_N00_M01_N01ILi128ELi128ES12_Lb0EEELb1ELb1EEEvPKT0_S24_PT1_T2_T3_T4_T5_, .Lfunc_end1-_ZN2ck19kernel_gemm_dl_v1r3INS_28GridwiseGemmDl_km_kn_mn_v1r3ILi256EDF16_fDF16_LNS_25InMemoryDataOperationEnumE0ENS_16TensorDescriptorINS_5TupleIJNS_5EmbedINS4_IJiiEEENS4_IJNS_17integral_constantIiLi1EEEiEEELb0EEENS_7UnMergeINS4_IJiNS7_IiLi2EEEEEELb0EEENS_11PassThroughIiEEEEENS4_IJNS_8SequenceIJLi0EEEENSI_IJLi2EEEENSI_IJLi1EEEEEEENS4_IJNSI_IJLi1ELi2EEEENSI_IJLi3ELi4EEEENSI_IJLi5EEEEEEENSI_IJLi3ELi5ELi4EEEElEENS3_INS4_IJNS5_IS6_NS4_IJiS8_EEELb0EEESE_SG_EEENS4_IJSJ_SL_SK_EEESQ_SR_lEENS3_INS4_IJSU_SG_SG_EEESW_NS4_IJSN_NSI_IJLi3EEEENSI_IJLi4EEEEEEESO_lEELi128ELi128ELi16ELi2ELi4ELi4ELi1ENSI_IJLi8ELi2EEEES13_NSI_IJLi2ELi1ELi4ELi2EEEENSI_IJLi8ELi1ELi32ELi1EEEENSI_IJLi0ELi3ELi1ELi2EEEES16_NSI_IJLi1ELi1ELi4ELi1EEEES16_NSI_IJLi1ELi1ELi4ELi2EEEES14_S15_S16_S16_S17_S16_S18_NSI_IJLi0ELi1ELi2ELi3ELi4ELi5EEEELi5ELi4EEEDF16_DF16_NS3_INS4_IJSA_SE_SG_SG_NSB_INS4_IJiNS7_IiLi128EEEEEELb0EEENSF_ISC_EEEEENS4_IJSJ_SK_SL_SZ_SP_S10_EEENS4_IJSN_SO_SP_NSI_IJLi6EEEENSI_IJLi7ELi8EEEENSI_IJLi9EEEEEEENSI_IJLi6ELi7ELi8ELi9EEEElEENS3_INS4_IJSU_SE_SG_SG_S1D_S1E_EEENS4_IJSJ_SL_SK_SZ_SP_S10_EEES1K_S1L_lEENS3_INS4_IJSU_SG_SG_NSB_INS4_IJiSC_NS7_IiLi64EEEEEELb0EEES1S_EEENS4_IJSJ_SL_SK_SZ_S10_EEENS4_IJSN_SZ_S10_NSI_IJLi5ELi6ELi7EEEENSI_IJLi8ELi9ELi10EEEEEEENSI_IJLi5ELi6ELi7ELi8ELi9ELi10EEEElEENS_31BlockToCTileMap_M00_N00_M01_N01ILi128ELi128ES12_Lb0EEELb1ELb1EEEvPKT0_S24_PT1_T2_T3_T4_T5_
                                        ; -- End function
	.set _ZN2ck19kernel_gemm_dl_v1r3INS_28GridwiseGemmDl_km_kn_mn_v1r3ILi256EDF16_fDF16_LNS_25InMemoryDataOperationEnumE0ENS_16TensorDescriptorINS_5TupleIJNS_5EmbedINS4_IJiiEEENS4_IJNS_17integral_constantIiLi1EEEiEEELb0EEENS_7UnMergeINS4_IJiNS7_IiLi2EEEEEELb0EEENS_11PassThroughIiEEEEENS4_IJNS_8SequenceIJLi0EEEENSI_IJLi2EEEENSI_IJLi1EEEEEEENS4_IJNSI_IJLi1ELi2EEEENSI_IJLi3ELi4EEEENSI_IJLi5EEEEEEENSI_IJLi3ELi5ELi4EEEElEENS3_INS4_IJNS5_IS6_NS4_IJiS8_EEELb0EEESE_SG_EEENS4_IJSJ_SL_SK_EEESQ_SR_lEENS3_INS4_IJSU_SG_SG_EEESW_NS4_IJSN_NSI_IJLi3EEEENSI_IJLi4EEEEEEESO_lEELi128ELi128ELi16ELi2ELi4ELi4ELi1ENSI_IJLi8ELi2EEEES13_NSI_IJLi2ELi1ELi4ELi2EEEENSI_IJLi8ELi1ELi32ELi1EEEENSI_IJLi0ELi3ELi1ELi2EEEES16_NSI_IJLi1ELi1ELi4ELi1EEEES16_NSI_IJLi1ELi1ELi4ELi2EEEES14_S15_S16_S16_S17_S16_S18_NSI_IJLi0ELi1ELi2ELi3ELi4ELi5EEEELi5ELi4EEEDF16_DF16_NS3_INS4_IJSA_SE_SG_SG_NSB_INS4_IJiNS7_IiLi128EEEEEELb0EEENSF_ISC_EEEEENS4_IJSJ_SK_SL_SZ_SP_S10_EEENS4_IJSN_SO_SP_NSI_IJLi6EEEENSI_IJLi7ELi8EEEENSI_IJLi9EEEEEEENSI_IJLi6ELi7ELi8ELi9EEEElEENS3_INS4_IJSU_SE_SG_SG_S1D_S1E_EEENS4_IJSJ_SL_SK_SZ_SP_S10_EEES1K_S1L_lEENS3_INS4_IJSU_SG_SG_NSB_INS4_IJiSC_NS7_IiLi64EEEEEELb0EEES1S_EEENS4_IJSJ_SL_SK_SZ_S10_EEENS4_IJSN_SZ_S10_NSI_IJLi5ELi6ELi7EEEENSI_IJLi8ELi9ELi10EEEEEEENSI_IJLi5ELi6ELi7ELi8ELi9ELi10EEEElEENS_31BlockToCTileMap_M00_N00_M01_N01ILi128ELi128ES12_Lb0EEELb1ELb1EEEvPKT0_S24_PT1_T2_T3_T4_T5_.num_vgpr, 110
	.set _ZN2ck19kernel_gemm_dl_v1r3INS_28GridwiseGemmDl_km_kn_mn_v1r3ILi256EDF16_fDF16_LNS_25InMemoryDataOperationEnumE0ENS_16TensorDescriptorINS_5TupleIJNS_5EmbedINS4_IJiiEEENS4_IJNS_17integral_constantIiLi1EEEiEEELb0EEENS_7UnMergeINS4_IJiNS7_IiLi2EEEEEELb0EEENS_11PassThroughIiEEEEENS4_IJNS_8SequenceIJLi0EEEENSI_IJLi2EEEENSI_IJLi1EEEEEEENS4_IJNSI_IJLi1ELi2EEEENSI_IJLi3ELi4EEEENSI_IJLi5EEEEEEENSI_IJLi3ELi5ELi4EEEElEENS3_INS4_IJNS5_IS6_NS4_IJiS8_EEELb0EEESE_SG_EEENS4_IJSJ_SL_SK_EEESQ_SR_lEENS3_INS4_IJSU_SG_SG_EEESW_NS4_IJSN_NSI_IJLi3EEEENSI_IJLi4EEEEEEESO_lEELi128ELi128ELi16ELi2ELi4ELi4ELi1ENSI_IJLi8ELi2EEEES13_NSI_IJLi2ELi1ELi4ELi2EEEENSI_IJLi8ELi1ELi32ELi1EEEENSI_IJLi0ELi3ELi1ELi2EEEES16_NSI_IJLi1ELi1ELi4ELi1EEEES16_NSI_IJLi1ELi1ELi4ELi2EEEES14_S15_S16_S16_S17_S16_S18_NSI_IJLi0ELi1ELi2ELi3ELi4ELi5EEEELi5ELi4EEEDF16_DF16_NS3_INS4_IJSA_SE_SG_SG_NSB_INS4_IJiNS7_IiLi128EEEEEELb0EEENSF_ISC_EEEEENS4_IJSJ_SK_SL_SZ_SP_S10_EEENS4_IJSN_SO_SP_NSI_IJLi6EEEENSI_IJLi7ELi8EEEENSI_IJLi9EEEEEEENSI_IJLi6ELi7ELi8ELi9EEEElEENS3_INS4_IJSU_SE_SG_SG_S1D_S1E_EEENS4_IJSJ_SL_SK_SZ_SP_S10_EEES1K_S1L_lEENS3_INS4_IJSU_SG_SG_NSB_INS4_IJiSC_NS7_IiLi64EEEEEELb0EEES1S_EEENS4_IJSJ_SL_SK_SZ_S10_EEENS4_IJSN_SZ_S10_NSI_IJLi5ELi6ELi7EEEENSI_IJLi8ELi9ELi10EEEEEEENSI_IJLi5ELi6ELi7ELi8ELi9ELi10EEEElEENS_31BlockToCTileMap_M00_N00_M01_N01ILi128ELi128ES12_Lb0EEELb1ELb1EEEvPKT0_S24_PT1_T2_T3_T4_T5_.num_agpr, 0
	.set _ZN2ck19kernel_gemm_dl_v1r3INS_28GridwiseGemmDl_km_kn_mn_v1r3ILi256EDF16_fDF16_LNS_25InMemoryDataOperationEnumE0ENS_16TensorDescriptorINS_5TupleIJNS_5EmbedINS4_IJiiEEENS4_IJNS_17integral_constantIiLi1EEEiEEELb0EEENS_7UnMergeINS4_IJiNS7_IiLi2EEEEEELb0EEENS_11PassThroughIiEEEEENS4_IJNS_8SequenceIJLi0EEEENSI_IJLi2EEEENSI_IJLi1EEEEEEENS4_IJNSI_IJLi1ELi2EEEENSI_IJLi3ELi4EEEENSI_IJLi5EEEEEEENSI_IJLi3ELi5ELi4EEEElEENS3_INS4_IJNS5_IS6_NS4_IJiS8_EEELb0EEESE_SG_EEENS4_IJSJ_SL_SK_EEESQ_SR_lEENS3_INS4_IJSU_SG_SG_EEESW_NS4_IJSN_NSI_IJLi3EEEENSI_IJLi4EEEEEEESO_lEELi128ELi128ELi16ELi2ELi4ELi4ELi1ENSI_IJLi8ELi2EEEES13_NSI_IJLi2ELi1ELi4ELi2EEEENSI_IJLi8ELi1ELi32ELi1EEEENSI_IJLi0ELi3ELi1ELi2EEEES16_NSI_IJLi1ELi1ELi4ELi1EEEES16_NSI_IJLi1ELi1ELi4ELi2EEEES14_S15_S16_S16_S17_S16_S18_NSI_IJLi0ELi1ELi2ELi3ELi4ELi5EEEELi5ELi4EEEDF16_DF16_NS3_INS4_IJSA_SE_SG_SG_NSB_INS4_IJiNS7_IiLi128EEEEEELb0EEENSF_ISC_EEEEENS4_IJSJ_SK_SL_SZ_SP_S10_EEENS4_IJSN_SO_SP_NSI_IJLi6EEEENSI_IJLi7ELi8EEEENSI_IJLi9EEEEEEENSI_IJLi6ELi7ELi8ELi9EEEElEENS3_INS4_IJSU_SE_SG_SG_S1D_S1E_EEENS4_IJSJ_SL_SK_SZ_SP_S10_EEES1K_S1L_lEENS3_INS4_IJSU_SG_SG_NSB_INS4_IJiSC_NS7_IiLi64EEEEEELb0EEES1S_EEENS4_IJSJ_SL_SK_SZ_S10_EEENS4_IJSN_SZ_S10_NSI_IJLi5ELi6ELi7EEEENSI_IJLi8ELi9ELi10EEEEEEENSI_IJLi5ELi6ELi7ELi8ELi9ELi10EEEElEENS_31BlockToCTileMap_M00_N00_M01_N01ILi128ELi128ES12_Lb0EEELb1ELb1EEEvPKT0_S24_PT1_T2_T3_T4_T5_.numbered_sgpr, 43
	.set _ZN2ck19kernel_gemm_dl_v1r3INS_28GridwiseGemmDl_km_kn_mn_v1r3ILi256EDF16_fDF16_LNS_25InMemoryDataOperationEnumE0ENS_16TensorDescriptorINS_5TupleIJNS_5EmbedINS4_IJiiEEENS4_IJNS_17integral_constantIiLi1EEEiEEELb0EEENS_7UnMergeINS4_IJiNS7_IiLi2EEEEEELb0EEENS_11PassThroughIiEEEEENS4_IJNS_8SequenceIJLi0EEEENSI_IJLi2EEEENSI_IJLi1EEEEEEENS4_IJNSI_IJLi1ELi2EEEENSI_IJLi3ELi4EEEENSI_IJLi5EEEEEEENSI_IJLi3ELi5ELi4EEEElEENS3_INS4_IJNS5_IS6_NS4_IJiS8_EEELb0EEESE_SG_EEENS4_IJSJ_SL_SK_EEESQ_SR_lEENS3_INS4_IJSU_SG_SG_EEESW_NS4_IJSN_NSI_IJLi3EEEENSI_IJLi4EEEEEEESO_lEELi128ELi128ELi16ELi2ELi4ELi4ELi1ENSI_IJLi8ELi2EEEES13_NSI_IJLi2ELi1ELi4ELi2EEEENSI_IJLi8ELi1ELi32ELi1EEEENSI_IJLi0ELi3ELi1ELi2EEEES16_NSI_IJLi1ELi1ELi4ELi1EEEES16_NSI_IJLi1ELi1ELi4ELi2EEEES14_S15_S16_S16_S17_S16_S18_NSI_IJLi0ELi1ELi2ELi3ELi4ELi5EEEELi5ELi4EEEDF16_DF16_NS3_INS4_IJSA_SE_SG_SG_NSB_INS4_IJiNS7_IiLi128EEEEEELb0EEENSF_ISC_EEEEENS4_IJSJ_SK_SL_SZ_SP_S10_EEENS4_IJSN_SO_SP_NSI_IJLi6EEEENSI_IJLi7ELi8EEEENSI_IJLi9EEEEEEENSI_IJLi6ELi7ELi8ELi9EEEElEENS3_INS4_IJSU_SE_SG_SG_S1D_S1E_EEENS4_IJSJ_SL_SK_SZ_SP_S10_EEES1K_S1L_lEENS3_INS4_IJSU_SG_SG_NSB_INS4_IJiSC_NS7_IiLi64EEEEEELb0EEES1S_EEENS4_IJSJ_SL_SK_SZ_S10_EEENS4_IJSN_SZ_S10_NSI_IJLi5ELi6ELi7EEEENSI_IJLi8ELi9ELi10EEEEEEENSI_IJLi5ELi6ELi7ELi8ELi9ELi10EEEElEENS_31BlockToCTileMap_M00_N00_M01_N01ILi128ELi128ES12_Lb0EEELb1ELb1EEEvPKT0_S24_PT1_T2_T3_T4_T5_.num_named_barrier, 0
	.set _ZN2ck19kernel_gemm_dl_v1r3INS_28GridwiseGemmDl_km_kn_mn_v1r3ILi256EDF16_fDF16_LNS_25InMemoryDataOperationEnumE0ENS_16TensorDescriptorINS_5TupleIJNS_5EmbedINS4_IJiiEEENS4_IJNS_17integral_constantIiLi1EEEiEEELb0EEENS_7UnMergeINS4_IJiNS7_IiLi2EEEEEELb0EEENS_11PassThroughIiEEEEENS4_IJNS_8SequenceIJLi0EEEENSI_IJLi2EEEENSI_IJLi1EEEEEEENS4_IJNSI_IJLi1ELi2EEEENSI_IJLi3ELi4EEEENSI_IJLi5EEEEEEENSI_IJLi3ELi5ELi4EEEElEENS3_INS4_IJNS5_IS6_NS4_IJiS8_EEELb0EEESE_SG_EEENS4_IJSJ_SL_SK_EEESQ_SR_lEENS3_INS4_IJSU_SG_SG_EEESW_NS4_IJSN_NSI_IJLi3EEEENSI_IJLi4EEEEEEESO_lEELi128ELi128ELi16ELi2ELi4ELi4ELi1ENSI_IJLi8ELi2EEEES13_NSI_IJLi2ELi1ELi4ELi2EEEENSI_IJLi8ELi1ELi32ELi1EEEENSI_IJLi0ELi3ELi1ELi2EEEES16_NSI_IJLi1ELi1ELi4ELi1EEEES16_NSI_IJLi1ELi1ELi4ELi2EEEES14_S15_S16_S16_S17_S16_S18_NSI_IJLi0ELi1ELi2ELi3ELi4ELi5EEEELi5ELi4EEEDF16_DF16_NS3_INS4_IJSA_SE_SG_SG_NSB_INS4_IJiNS7_IiLi128EEEEEELb0EEENSF_ISC_EEEEENS4_IJSJ_SK_SL_SZ_SP_S10_EEENS4_IJSN_SO_SP_NSI_IJLi6EEEENSI_IJLi7ELi8EEEENSI_IJLi9EEEEEEENSI_IJLi6ELi7ELi8ELi9EEEElEENS3_INS4_IJSU_SE_SG_SG_S1D_S1E_EEENS4_IJSJ_SL_SK_SZ_SP_S10_EEES1K_S1L_lEENS3_INS4_IJSU_SG_SG_NSB_INS4_IJiSC_NS7_IiLi64EEEEEELb0EEES1S_EEENS4_IJSJ_SL_SK_SZ_S10_EEENS4_IJSN_SZ_S10_NSI_IJLi5ELi6ELi7EEEENSI_IJLi8ELi9ELi10EEEEEEENSI_IJLi5ELi6ELi7ELi8ELi9ELi10EEEElEENS_31BlockToCTileMap_M00_N00_M01_N01ILi128ELi128ES12_Lb0EEELb1ELb1EEEvPKT0_S24_PT1_T2_T3_T4_T5_.private_seg_size, 0
	.set _ZN2ck19kernel_gemm_dl_v1r3INS_28GridwiseGemmDl_km_kn_mn_v1r3ILi256EDF16_fDF16_LNS_25InMemoryDataOperationEnumE0ENS_16TensorDescriptorINS_5TupleIJNS_5EmbedINS4_IJiiEEENS4_IJNS_17integral_constantIiLi1EEEiEEELb0EEENS_7UnMergeINS4_IJiNS7_IiLi2EEEEEELb0EEENS_11PassThroughIiEEEEENS4_IJNS_8SequenceIJLi0EEEENSI_IJLi2EEEENSI_IJLi1EEEEEEENS4_IJNSI_IJLi1ELi2EEEENSI_IJLi3ELi4EEEENSI_IJLi5EEEEEEENSI_IJLi3ELi5ELi4EEEElEENS3_INS4_IJNS5_IS6_NS4_IJiS8_EEELb0EEESE_SG_EEENS4_IJSJ_SL_SK_EEESQ_SR_lEENS3_INS4_IJSU_SG_SG_EEESW_NS4_IJSN_NSI_IJLi3EEEENSI_IJLi4EEEEEEESO_lEELi128ELi128ELi16ELi2ELi4ELi4ELi1ENSI_IJLi8ELi2EEEES13_NSI_IJLi2ELi1ELi4ELi2EEEENSI_IJLi8ELi1ELi32ELi1EEEENSI_IJLi0ELi3ELi1ELi2EEEES16_NSI_IJLi1ELi1ELi4ELi1EEEES16_NSI_IJLi1ELi1ELi4ELi2EEEES14_S15_S16_S16_S17_S16_S18_NSI_IJLi0ELi1ELi2ELi3ELi4ELi5EEEELi5ELi4EEEDF16_DF16_NS3_INS4_IJSA_SE_SG_SG_NSB_INS4_IJiNS7_IiLi128EEEEEELb0EEENSF_ISC_EEEEENS4_IJSJ_SK_SL_SZ_SP_S10_EEENS4_IJSN_SO_SP_NSI_IJLi6EEEENSI_IJLi7ELi8EEEENSI_IJLi9EEEEEEENSI_IJLi6ELi7ELi8ELi9EEEElEENS3_INS4_IJSU_SE_SG_SG_S1D_S1E_EEENS4_IJSJ_SL_SK_SZ_SP_S10_EEES1K_S1L_lEENS3_INS4_IJSU_SG_SG_NSB_INS4_IJiSC_NS7_IiLi64EEEEEELb0EEES1S_EEENS4_IJSJ_SL_SK_SZ_S10_EEENS4_IJSN_SZ_S10_NSI_IJLi5ELi6ELi7EEEENSI_IJLi8ELi9ELi10EEEEEEENSI_IJLi5ELi6ELi7ELi8ELi9ELi10EEEElEENS_31BlockToCTileMap_M00_N00_M01_N01ILi128ELi128ES12_Lb0EEELb1ELb1EEEvPKT0_S24_PT1_T2_T3_T4_T5_.uses_vcc, 0
	.set _ZN2ck19kernel_gemm_dl_v1r3INS_28GridwiseGemmDl_km_kn_mn_v1r3ILi256EDF16_fDF16_LNS_25InMemoryDataOperationEnumE0ENS_16TensorDescriptorINS_5TupleIJNS_5EmbedINS4_IJiiEEENS4_IJNS_17integral_constantIiLi1EEEiEEELb0EEENS_7UnMergeINS4_IJiNS7_IiLi2EEEEEELb0EEENS_11PassThroughIiEEEEENS4_IJNS_8SequenceIJLi0EEEENSI_IJLi2EEEENSI_IJLi1EEEEEEENS4_IJNSI_IJLi1ELi2EEEENSI_IJLi3ELi4EEEENSI_IJLi5EEEEEEENSI_IJLi3ELi5ELi4EEEElEENS3_INS4_IJNS5_IS6_NS4_IJiS8_EEELb0EEESE_SG_EEENS4_IJSJ_SL_SK_EEESQ_SR_lEENS3_INS4_IJSU_SG_SG_EEESW_NS4_IJSN_NSI_IJLi3EEEENSI_IJLi4EEEEEEESO_lEELi128ELi128ELi16ELi2ELi4ELi4ELi1ENSI_IJLi8ELi2EEEES13_NSI_IJLi2ELi1ELi4ELi2EEEENSI_IJLi8ELi1ELi32ELi1EEEENSI_IJLi0ELi3ELi1ELi2EEEES16_NSI_IJLi1ELi1ELi4ELi1EEEES16_NSI_IJLi1ELi1ELi4ELi2EEEES14_S15_S16_S16_S17_S16_S18_NSI_IJLi0ELi1ELi2ELi3ELi4ELi5EEEELi5ELi4EEEDF16_DF16_NS3_INS4_IJSA_SE_SG_SG_NSB_INS4_IJiNS7_IiLi128EEEEEELb0EEENSF_ISC_EEEEENS4_IJSJ_SK_SL_SZ_SP_S10_EEENS4_IJSN_SO_SP_NSI_IJLi6EEEENSI_IJLi7ELi8EEEENSI_IJLi9EEEEEEENSI_IJLi6ELi7ELi8ELi9EEEElEENS3_INS4_IJSU_SE_SG_SG_S1D_S1E_EEENS4_IJSJ_SL_SK_SZ_SP_S10_EEES1K_S1L_lEENS3_INS4_IJSU_SG_SG_NSB_INS4_IJiSC_NS7_IiLi64EEEEEELb0EEES1S_EEENS4_IJSJ_SL_SK_SZ_S10_EEENS4_IJSN_SZ_S10_NSI_IJLi5ELi6ELi7EEEENSI_IJLi8ELi9ELi10EEEEEEENSI_IJLi5ELi6ELi7ELi8ELi9ELi10EEEElEENS_31BlockToCTileMap_M00_N00_M01_N01ILi128ELi128ES12_Lb0EEELb1ELb1EEEvPKT0_S24_PT1_T2_T3_T4_T5_.uses_flat_scratch, 0
	.set _ZN2ck19kernel_gemm_dl_v1r3INS_28GridwiseGemmDl_km_kn_mn_v1r3ILi256EDF16_fDF16_LNS_25InMemoryDataOperationEnumE0ENS_16TensorDescriptorINS_5TupleIJNS_5EmbedINS4_IJiiEEENS4_IJNS_17integral_constantIiLi1EEEiEEELb0EEENS_7UnMergeINS4_IJiNS7_IiLi2EEEEEELb0EEENS_11PassThroughIiEEEEENS4_IJNS_8SequenceIJLi0EEEENSI_IJLi2EEEENSI_IJLi1EEEEEEENS4_IJNSI_IJLi1ELi2EEEENSI_IJLi3ELi4EEEENSI_IJLi5EEEEEEENSI_IJLi3ELi5ELi4EEEElEENS3_INS4_IJNS5_IS6_NS4_IJiS8_EEELb0EEESE_SG_EEENS4_IJSJ_SL_SK_EEESQ_SR_lEENS3_INS4_IJSU_SG_SG_EEESW_NS4_IJSN_NSI_IJLi3EEEENSI_IJLi4EEEEEEESO_lEELi128ELi128ELi16ELi2ELi4ELi4ELi1ENSI_IJLi8ELi2EEEES13_NSI_IJLi2ELi1ELi4ELi2EEEENSI_IJLi8ELi1ELi32ELi1EEEENSI_IJLi0ELi3ELi1ELi2EEEES16_NSI_IJLi1ELi1ELi4ELi1EEEES16_NSI_IJLi1ELi1ELi4ELi2EEEES14_S15_S16_S16_S17_S16_S18_NSI_IJLi0ELi1ELi2ELi3ELi4ELi5EEEELi5ELi4EEEDF16_DF16_NS3_INS4_IJSA_SE_SG_SG_NSB_INS4_IJiNS7_IiLi128EEEEEELb0EEENSF_ISC_EEEEENS4_IJSJ_SK_SL_SZ_SP_S10_EEENS4_IJSN_SO_SP_NSI_IJLi6EEEENSI_IJLi7ELi8EEEENSI_IJLi9EEEEEEENSI_IJLi6ELi7ELi8ELi9EEEElEENS3_INS4_IJSU_SE_SG_SG_S1D_S1E_EEENS4_IJSJ_SL_SK_SZ_SP_S10_EEES1K_S1L_lEENS3_INS4_IJSU_SG_SG_NSB_INS4_IJiSC_NS7_IiLi64EEEEEELb0EEES1S_EEENS4_IJSJ_SL_SK_SZ_S10_EEENS4_IJSN_SZ_S10_NSI_IJLi5ELi6ELi7EEEENSI_IJLi8ELi9ELi10EEEEEEENSI_IJLi5ELi6ELi7ELi8ELi9ELi10EEEElEENS_31BlockToCTileMap_M00_N00_M01_N01ILi128ELi128ES12_Lb0EEELb1ELb1EEEvPKT0_S24_PT1_T2_T3_T4_T5_.has_dyn_sized_stack, 0
	.set _ZN2ck19kernel_gemm_dl_v1r3INS_28GridwiseGemmDl_km_kn_mn_v1r3ILi256EDF16_fDF16_LNS_25InMemoryDataOperationEnumE0ENS_16TensorDescriptorINS_5TupleIJNS_5EmbedINS4_IJiiEEENS4_IJNS_17integral_constantIiLi1EEEiEEELb0EEENS_7UnMergeINS4_IJiNS7_IiLi2EEEEEELb0EEENS_11PassThroughIiEEEEENS4_IJNS_8SequenceIJLi0EEEENSI_IJLi2EEEENSI_IJLi1EEEEEEENS4_IJNSI_IJLi1ELi2EEEENSI_IJLi3ELi4EEEENSI_IJLi5EEEEEEENSI_IJLi3ELi5ELi4EEEElEENS3_INS4_IJNS5_IS6_NS4_IJiS8_EEELb0EEESE_SG_EEENS4_IJSJ_SL_SK_EEESQ_SR_lEENS3_INS4_IJSU_SG_SG_EEESW_NS4_IJSN_NSI_IJLi3EEEENSI_IJLi4EEEEEEESO_lEELi128ELi128ELi16ELi2ELi4ELi4ELi1ENSI_IJLi8ELi2EEEES13_NSI_IJLi2ELi1ELi4ELi2EEEENSI_IJLi8ELi1ELi32ELi1EEEENSI_IJLi0ELi3ELi1ELi2EEEES16_NSI_IJLi1ELi1ELi4ELi1EEEES16_NSI_IJLi1ELi1ELi4ELi2EEEES14_S15_S16_S16_S17_S16_S18_NSI_IJLi0ELi1ELi2ELi3ELi4ELi5EEEELi5ELi4EEEDF16_DF16_NS3_INS4_IJSA_SE_SG_SG_NSB_INS4_IJiNS7_IiLi128EEEEEELb0EEENSF_ISC_EEEEENS4_IJSJ_SK_SL_SZ_SP_S10_EEENS4_IJSN_SO_SP_NSI_IJLi6EEEENSI_IJLi7ELi8EEEENSI_IJLi9EEEEEEENSI_IJLi6ELi7ELi8ELi9EEEElEENS3_INS4_IJSU_SE_SG_SG_S1D_S1E_EEENS4_IJSJ_SL_SK_SZ_SP_S10_EEES1K_S1L_lEENS3_INS4_IJSU_SG_SG_NSB_INS4_IJiSC_NS7_IiLi64EEEEEELb0EEES1S_EEENS4_IJSJ_SL_SK_SZ_S10_EEENS4_IJSN_SZ_S10_NSI_IJLi5ELi6ELi7EEEENSI_IJLi8ELi9ELi10EEEEEEENSI_IJLi5ELi6ELi7ELi8ELi9ELi10EEEElEENS_31BlockToCTileMap_M00_N00_M01_N01ILi128ELi128ES12_Lb0EEELb1ELb1EEEvPKT0_S24_PT1_T2_T3_T4_T5_.has_recursion, 0
	.set _ZN2ck19kernel_gemm_dl_v1r3INS_28GridwiseGemmDl_km_kn_mn_v1r3ILi256EDF16_fDF16_LNS_25InMemoryDataOperationEnumE0ENS_16TensorDescriptorINS_5TupleIJNS_5EmbedINS4_IJiiEEENS4_IJNS_17integral_constantIiLi1EEEiEEELb0EEENS_7UnMergeINS4_IJiNS7_IiLi2EEEEEELb0EEENS_11PassThroughIiEEEEENS4_IJNS_8SequenceIJLi0EEEENSI_IJLi2EEEENSI_IJLi1EEEEEEENS4_IJNSI_IJLi1ELi2EEEENSI_IJLi3ELi4EEEENSI_IJLi5EEEEEEENSI_IJLi3ELi5ELi4EEEElEENS3_INS4_IJNS5_IS6_NS4_IJiS8_EEELb0EEESE_SG_EEENS4_IJSJ_SL_SK_EEESQ_SR_lEENS3_INS4_IJSU_SG_SG_EEESW_NS4_IJSN_NSI_IJLi3EEEENSI_IJLi4EEEEEEESO_lEELi128ELi128ELi16ELi2ELi4ELi4ELi1ENSI_IJLi8ELi2EEEES13_NSI_IJLi2ELi1ELi4ELi2EEEENSI_IJLi8ELi1ELi32ELi1EEEENSI_IJLi0ELi3ELi1ELi2EEEES16_NSI_IJLi1ELi1ELi4ELi1EEEES16_NSI_IJLi1ELi1ELi4ELi2EEEES14_S15_S16_S16_S17_S16_S18_NSI_IJLi0ELi1ELi2ELi3ELi4ELi5EEEELi5ELi4EEEDF16_DF16_NS3_INS4_IJSA_SE_SG_SG_NSB_INS4_IJiNS7_IiLi128EEEEEELb0EEENSF_ISC_EEEEENS4_IJSJ_SK_SL_SZ_SP_S10_EEENS4_IJSN_SO_SP_NSI_IJLi6EEEENSI_IJLi7ELi8EEEENSI_IJLi9EEEEEEENSI_IJLi6ELi7ELi8ELi9EEEElEENS3_INS4_IJSU_SE_SG_SG_S1D_S1E_EEENS4_IJSJ_SL_SK_SZ_SP_S10_EEES1K_S1L_lEENS3_INS4_IJSU_SG_SG_NSB_INS4_IJiSC_NS7_IiLi64EEEEEELb0EEES1S_EEENS4_IJSJ_SL_SK_SZ_S10_EEENS4_IJSN_SZ_S10_NSI_IJLi5ELi6ELi7EEEENSI_IJLi8ELi9ELi10EEEEEEENSI_IJLi5ELi6ELi7ELi8ELi9ELi10EEEElEENS_31BlockToCTileMap_M00_N00_M01_N01ILi128ELi128ES12_Lb0EEELb1ELb1EEEvPKT0_S24_PT1_T2_T3_T4_T5_.has_indirect_call, 0
	.section	.AMDGPU.csdata,"",@progbits
; Kernel info:
; codeLenInByte = 21976
; TotalNumSgprs: 49
; NumVgprs: 110
; NumAgprs: 0
; TotalNumVgprs: 110
; ScratchSize: 0
; MemoryBound: 0
; FloatMode: 240
; IeeeMode: 1
; LDSByteSize: 32768 bytes/workgroup (compile time only)
; SGPRBlocks: 12
; VGPRBlocks: 13
; NumSGPRsForWavesPerEU: 102
; NumVGPRsForWavesPerEU: 110
; AccumOffset: 112
; Occupancy: 4
; WaveLimiterHint : 0
; COMPUTE_PGM_RSRC2:SCRATCH_EN: 0
; COMPUTE_PGM_RSRC2:USER_SGPR: 2
; COMPUTE_PGM_RSRC2:TRAP_HANDLER: 0
; COMPUTE_PGM_RSRC2:TGID_X_EN: 1
; COMPUTE_PGM_RSRC2:TGID_Y_EN: 0
; COMPUTE_PGM_RSRC2:TGID_Z_EN: 0
; COMPUTE_PGM_RSRC2:TIDIG_COMP_CNT: 0
; COMPUTE_PGM_RSRC3_GFX90A:ACCUM_OFFSET: 27
; COMPUTE_PGM_RSRC3_GFX90A:TG_SPLIT: 0
	.section	.text._ZN2ck19kernel_gemm_dl_v1r3INS_28GridwiseGemmDl_km_kn_mn_v1r3ILi256EDF16_fDF16_LNS_25InMemoryDataOperationEnumE0ENS_16TensorDescriptorINS_5TupleIJNS_5EmbedINS4_IJiiEEENS4_IJNS_17integral_constantIiLi1EEEiEEELb0EEENS_7UnMergeINS4_IJiNS7_IiLi2EEEEEELb0EEENS_11PassThroughIiEEEEENS4_IJNS_8SequenceIJLi0EEEENSI_IJLi2EEEENSI_IJLi1EEEEEEENS4_IJNSI_IJLi1ELi2EEEENSI_IJLi3ELi4EEEENSI_IJLi5EEEEEEENSI_IJLi3ELi5ELi4EEEElEENS3_INS4_IJNS5_IS6_NS4_IJiS8_EEELb0EEESE_SG_EEENS4_IJSJ_SL_SK_EEESQ_SR_lEENS3_INS4_IJSU_SG_SG_EEESW_NS4_IJSN_NSI_IJLi3EEEENSI_IJLi4EEEEEEESO_lEELi128ELi128ELi16ELi2ELi4ELi4ELi1ENSI_IJLi8ELi2EEEES13_NSI_IJLi2ELi1ELi4ELi2EEEENSI_IJLi8ELi1ELi32ELi1EEEENSI_IJLi0ELi3ELi1ELi2EEEES16_NSI_IJLi1ELi1ELi4ELi1EEEES16_NSI_IJLi1ELi1ELi4ELi2EEEES14_S15_S16_S16_S17_S16_S18_NSI_IJLi0ELi1ELi2ELi3ELi4ELi5EEEELi5ELi4EEEDF16_DF16_NS3_INS4_IJSA_SE_SG_SG_NSB_INS4_IJiNS7_IiLi128EEEEEELb0EEENSF_ISC_EEEEENS4_IJSJ_SK_SL_SZ_SP_S10_EEENS4_IJSN_SO_SP_NSI_IJLi6EEEENSI_IJLi7ELi8EEEENSI_IJLi9EEEEEEENSI_IJLi6ELi7ELi8ELi9EEEElEENS3_INS4_IJSU_SE_SG_SG_S1D_S1E_EEENS4_IJSJ_SL_SK_SZ_SP_S10_EEES1K_S1L_lEENS3_INS4_IJSU_SG_SG_NSB_INS4_IJiSC_NS7_IiLi64EEEEEELb0EEES1S_EEENS4_IJSJ_SL_SK_SZ_S10_EEENS4_IJSN_SZ_S10_NSI_IJLi5ELi6ELi7EEEENSI_IJLi8ELi9ELi10EEEEEEENSI_IJLi5ELi6ELi7ELi8ELi9ELi10EEEElEENS_31BlockToCTileMap_M00_N00_M01_N01ILi128ELi128ES12_Lb0EEELb1ELb0EEEvPKT0_S24_PT1_T2_T3_T4_T5_,"axG",@progbits,_ZN2ck19kernel_gemm_dl_v1r3INS_28GridwiseGemmDl_km_kn_mn_v1r3ILi256EDF16_fDF16_LNS_25InMemoryDataOperationEnumE0ENS_16TensorDescriptorINS_5TupleIJNS_5EmbedINS4_IJiiEEENS4_IJNS_17integral_constantIiLi1EEEiEEELb0EEENS_7UnMergeINS4_IJiNS7_IiLi2EEEEEELb0EEENS_11PassThroughIiEEEEENS4_IJNS_8SequenceIJLi0EEEENSI_IJLi2EEEENSI_IJLi1EEEEEEENS4_IJNSI_IJLi1ELi2EEEENSI_IJLi3ELi4EEEENSI_IJLi5EEEEEEENSI_IJLi3ELi5ELi4EEEElEENS3_INS4_IJNS5_IS6_NS4_IJiS8_EEELb0EEESE_SG_EEENS4_IJSJ_SL_SK_EEESQ_SR_lEENS3_INS4_IJSU_SG_SG_EEESW_NS4_IJSN_NSI_IJLi3EEEENSI_IJLi4EEEEEEESO_lEELi128ELi128ELi16ELi2ELi4ELi4ELi1ENSI_IJLi8ELi2EEEES13_NSI_IJLi2ELi1ELi4ELi2EEEENSI_IJLi8ELi1ELi32ELi1EEEENSI_IJLi0ELi3ELi1ELi2EEEES16_NSI_IJLi1ELi1ELi4ELi1EEEES16_NSI_IJLi1ELi1ELi4ELi2EEEES14_S15_S16_S16_S17_S16_S18_NSI_IJLi0ELi1ELi2ELi3ELi4ELi5EEEELi5ELi4EEEDF16_DF16_NS3_INS4_IJSA_SE_SG_SG_NSB_INS4_IJiNS7_IiLi128EEEEEELb0EEENSF_ISC_EEEEENS4_IJSJ_SK_SL_SZ_SP_S10_EEENS4_IJSN_SO_SP_NSI_IJLi6EEEENSI_IJLi7ELi8EEEENSI_IJLi9EEEEEEENSI_IJLi6ELi7ELi8ELi9EEEElEENS3_INS4_IJSU_SE_SG_SG_S1D_S1E_EEENS4_IJSJ_SL_SK_SZ_SP_S10_EEES1K_S1L_lEENS3_INS4_IJSU_SG_SG_NSB_INS4_IJiSC_NS7_IiLi64EEEEEELb0EEES1S_EEENS4_IJSJ_SL_SK_SZ_S10_EEENS4_IJSN_SZ_S10_NSI_IJLi5ELi6ELi7EEEENSI_IJLi8ELi9ELi10EEEEEEENSI_IJLi5ELi6ELi7ELi8ELi9ELi10EEEElEENS_31BlockToCTileMap_M00_N00_M01_N01ILi128ELi128ES12_Lb0EEELb1ELb0EEEvPKT0_S24_PT1_T2_T3_T4_T5_,comdat
	.protected	_ZN2ck19kernel_gemm_dl_v1r3INS_28GridwiseGemmDl_km_kn_mn_v1r3ILi256EDF16_fDF16_LNS_25InMemoryDataOperationEnumE0ENS_16TensorDescriptorINS_5TupleIJNS_5EmbedINS4_IJiiEEENS4_IJNS_17integral_constantIiLi1EEEiEEELb0EEENS_7UnMergeINS4_IJiNS7_IiLi2EEEEEELb0EEENS_11PassThroughIiEEEEENS4_IJNS_8SequenceIJLi0EEEENSI_IJLi2EEEENSI_IJLi1EEEEEEENS4_IJNSI_IJLi1ELi2EEEENSI_IJLi3ELi4EEEENSI_IJLi5EEEEEEENSI_IJLi3ELi5ELi4EEEElEENS3_INS4_IJNS5_IS6_NS4_IJiS8_EEELb0EEESE_SG_EEENS4_IJSJ_SL_SK_EEESQ_SR_lEENS3_INS4_IJSU_SG_SG_EEESW_NS4_IJSN_NSI_IJLi3EEEENSI_IJLi4EEEEEEESO_lEELi128ELi128ELi16ELi2ELi4ELi4ELi1ENSI_IJLi8ELi2EEEES13_NSI_IJLi2ELi1ELi4ELi2EEEENSI_IJLi8ELi1ELi32ELi1EEEENSI_IJLi0ELi3ELi1ELi2EEEES16_NSI_IJLi1ELi1ELi4ELi1EEEES16_NSI_IJLi1ELi1ELi4ELi2EEEES14_S15_S16_S16_S17_S16_S18_NSI_IJLi0ELi1ELi2ELi3ELi4ELi5EEEELi5ELi4EEEDF16_DF16_NS3_INS4_IJSA_SE_SG_SG_NSB_INS4_IJiNS7_IiLi128EEEEEELb0EEENSF_ISC_EEEEENS4_IJSJ_SK_SL_SZ_SP_S10_EEENS4_IJSN_SO_SP_NSI_IJLi6EEEENSI_IJLi7ELi8EEEENSI_IJLi9EEEEEEENSI_IJLi6ELi7ELi8ELi9EEEElEENS3_INS4_IJSU_SE_SG_SG_S1D_S1E_EEENS4_IJSJ_SL_SK_SZ_SP_S10_EEES1K_S1L_lEENS3_INS4_IJSU_SG_SG_NSB_INS4_IJiSC_NS7_IiLi64EEEEEELb0EEES1S_EEENS4_IJSJ_SL_SK_SZ_S10_EEENS4_IJSN_SZ_S10_NSI_IJLi5ELi6ELi7EEEENSI_IJLi8ELi9ELi10EEEEEEENSI_IJLi5ELi6ELi7ELi8ELi9ELi10EEEElEENS_31BlockToCTileMap_M00_N00_M01_N01ILi128ELi128ES12_Lb0EEELb1ELb0EEEvPKT0_S24_PT1_T2_T3_T4_T5_ ; -- Begin function _ZN2ck19kernel_gemm_dl_v1r3INS_28GridwiseGemmDl_km_kn_mn_v1r3ILi256EDF16_fDF16_LNS_25InMemoryDataOperationEnumE0ENS_16TensorDescriptorINS_5TupleIJNS_5EmbedINS4_IJiiEEENS4_IJNS_17integral_constantIiLi1EEEiEEELb0EEENS_7UnMergeINS4_IJiNS7_IiLi2EEEEEELb0EEENS_11PassThroughIiEEEEENS4_IJNS_8SequenceIJLi0EEEENSI_IJLi2EEEENSI_IJLi1EEEEEEENS4_IJNSI_IJLi1ELi2EEEENSI_IJLi3ELi4EEEENSI_IJLi5EEEEEEENSI_IJLi3ELi5ELi4EEEElEENS3_INS4_IJNS5_IS6_NS4_IJiS8_EEELb0EEESE_SG_EEENS4_IJSJ_SL_SK_EEESQ_SR_lEENS3_INS4_IJSU_SG_SG_EEESW_NS4_IJSN_NSI_IJLi3EEEENSI_IJLi4EEEEEEESO_lEELi128ELi128ELi16ELi2ELi4ELi4ELi1ENSI_IJLi8ELi2EEEES13_NSI_IJLi2ELi1ELi4ELi2EEEENSI_IJLi8ELi1ELi32ELi1EEEENSI_IJLi0ELi3ELi1ELi2EEEES16_NSI_IJLi1ELi1ELi4ELi1EEEES16_NSI_IJLi1ELi1ELi4ELi2EEEES14_S15_S16_S16_S17_S16_S18_NSI_IJLi0ELi1ELi2ELi3ELi4ELi5EEEELi5ELi4EEEDF16_DF16_NS3_INS4_IJSA_SE_SG_SG_NSB_INS4_IJiNS7_IiLi128EEEEEELb0EEENSF_ISC_EEEEENS4_IJSJ_SK_SL_SZ_SP_S10_EEENS4_IJSN_SO_SP_NSI_IJLi6EEEENSI_IJLi7ELi8EEEENSI_IJLi9EEEEEEENSI_IJLi6ELi7ELi8ELi9EEEElEENS3_INS4_IJSU_SE_SG_SG_S1D_S1E_EEENS4_IJSJ_SL_SK_SZ_SP_S10_EEES1K_S1L_lEENS3_INS4_IJSU_SG_SG_NSB_INS4_IJiSC_NS7_IiLi64EEEEEELb0EEES1S_EEENS4_IJSJ_SL_SK_SZ_S10_EEENS4_IJSN_SZ_S10_NSI_IJLi5ELi6ELi7EEEENSI_IJLi8ELi9ELi10EEEEEEENSI_IJLi5ELi6ELi7ELi8ELi9ELi10EEEElEENS_31BlockToCTileMap_M00_N00_M01_N01ILi128ELi128ES12_Lb0EEELb1ELb0EEEvPKT0_S24_PT1_T2_T3_T4_T5_
	.globl	_ZN2ck19kernel_gemm_dl_v1r3INS_28GridwiseGemmDl_km_kn_mn_v1r3ILi256EDF16_fDF16_LNS_25InMemoryDataOperationEnumE0ENS_16TensorDescriptorINS_5TupleIJNS_5EmbedINS4_IJiiEEENS4_IJNS_17integral_constantIiLi1EEEiEEELb0EEENS_7UnMergeINS4_IJiNS7_IiLi2EEEEEELb0EEENS_11PassThroughIiEEEEENS4_IJNS_8SequenceIJLi0EEEENSI_IJLi2EEEENSI_IJLi1EEEEEEENS4_IJNSI_IJLi1ELi2EEEENSI_IJLi3ELi4EEEENSI_IJLi5EEEEEEENSI_IJLi3ELi5ELi4EEEElEENS3_INS4_IJNS5_IS6_NS4_IJiS8_EEELb0EEESE_SG_EEENS4_IJSJ_SL_SK_EEESQ_SR_lEENS3_INS4_IJSU_SG_SG_EEESW_NS4_IJSN_NSI_IJLi3EEEENSI_IJLi4EEEEEEESO_lEELi128ELi128ELi16ELi2ELi4ELi4ELi1ENSI_IJLi8ELi2EEEES13_NSI_IJLi2ELi1ELi4ELi2EEEENSI_IJLi8ELi1ELi32ELi1EEEENSI_IJLi0ELi3ELi1ELi2EEEES16_NSI_IJLi1ELi1ELi4ELi1EEEES16_NSI_IJLi1ELi1ELi4ELi2EEEES14_S15_S16_S16_S17_S16_S18_NSI_IJLi0ELi1ELi2ELi3ELi4ELi5EEEELi5ELi4EEEDF16_DF16_NS3_INS4_IJSA_SE_SG_SG_NSB_INS4_IJiNS7_IiLi128EEEEEELb0EEENSF_ISC_EEEEENS4_IJSJ_SK_SL_SZ_SP_S10_EEENS4_IJSN_SO_SP_NSI_IJLi6EEEENSI_IJLi7ELi8EEEENSI_IJLi9EEEEEEENSI_IJLi6ELi7ELi8ELi9EEEElEENS3_INS4_IJSU_SE_SG_SG_S1D_S1E_EEENS4_IJSJ_SL_SK_SZ_SP_S10_EEES1K_S1L_lEENS3_INS4_IJSU_SG_SG_NSB_INS4_IJiSC_NS7_IiLi64EEEEEELb0EEES1S_EEENS4_IJSJ_SL_SK_SZ_S10_EEENS4_IJSN_SZ_S10_NSI_IJLi5ELi6ELi7EEEENSI_IJLi8ELi9ELi10EEEEEEENSI_IJLi5ELi6ELi7ELi8ELi9ELi10EEEElEENS_31BlockToCTileMap_M00_N00_M01_N01ILi128ELi128ES12_Lb0EEELb1ELb0EEEvPKT0_S24_PT1_T2_T3_T4_T5_
	.p2align	8
	.type	_ZN2ck19kernel_gemm_dl_v1r3INS_28GridwiseGemmDl_km_kn_mn_v1r3ILi256EDF16_fDF16_LNS_25InMemoryDataOperationEnumE0ENS_16TensorDescriptorINS_5TupleIJNS_5EmbedINS4_IJiiEEENS4_IJNS_17integral_constantIiLi1EEEiEEELb0EEENS_7UnMergeINS4_IJiNS7_IiLi2EEEEEELb0EEENS_11PassThroughIiEEEEENS4_IJNS_8SequenceIJLi0EEEENSI_IJLi2EEEENSI_IJLi1EEEEEEENS4_IJNSI_IJLi1ELi2EEEENSI_IJLi3ELi4EEEENSI_IJLi5EEEEEEENSI_IJLi3ELi5ELi4EEEElEENS3_INS4_IJNS5_IS6_NS4_IJiS8_EEELb0EEESE_SG_EEENS4_IJSJ_SL_SK_EEESQ_SR_lEENS3_INS4_IJSU_SG_SG_EEESW_NS4_IJSN_NSI_IJLi3EEEENSI_IJLi4EEEEEEESO_lEELi128ELi128ELi16ELi2ELi4ELi4ELi1ENSI_IJLi8ELi2EEEES13_NSI_IJLi2ELi1ELi4ELi2EEEENSI_IJLi8ELi1ELi32ELi1EEEENSI_IJLi0ELi3ELi1ELi2EEEES16_NSI_IJLi1ELi1ELi4ELi1EEEES16_NSI_IJLi1ELi1ELi4ELi2EEEES14_S15_S16_S16_S17_S16_S18_NSI_IJLi0ELi1ELi2ELi3ELi4ELi5EEEELi5ELi4EEEDF16_DF16_NS3_INS4_IJSA_SE_SG_SG_NSB_INS4_IJiNS7_IiLi128EEEEEELb0EEENSF_ISC_EEEEENS4_IJSJ_SK_SL_SZ_SP_S10_EEENS4_IJSN_SO_SP_NSI_IJLi6EEEENSI_IJLi7ELi8EEEENSI_IJLi9EEEEEEENSI_IJLi6ELi7ELi8ELi9EEEElEENS3_INS4_IJSU_SE_SG_SG_S1D_S1E_EEENS4_IJSJ_SL_SK_SZ_SP_S10_EEES1K_S1L_lEENS3_INS4_IJSU_SG_SG_NSB_INS4_IJiSC_NS7_IiLi64EEEEEELb0EEES1S_EEENS4_IJSJ_SL_SK_SZ_S10_EEENS4_IJSN_SZ_S10_NSI_IJLi5ELi6ELi7EEEENSI_IJLi8ELi9ELi10EEEEEEENSI_IJLi5ELi6ELi7ELi8ELi9ELi10EEEElEENS_31BlockToCTileMap_M00_N00_M01_N01ILi128ELi128ES12_Lb0EEELb1ELb0EEEvPKT0_S24_PT1_T2_T3_T4_T5_,@function
_ZN2ck19kernel_gemm_dl_v1r3INS_28GridwiseGemmDl_km_kn_mn_v1r3ILi256EDF16_fDF16_LNS_25InMemoryDataOperationEnumE0ENS_16TensorDescriptorINS_5TupleIJNS_5EmbedINS4_IJiiEEENS4_IJNS_17integral_constantIiLi1EEEiEEELb0EEENS_7UnMergeINS4_IJiNS7_IiLi2EEEEEELb0EEENS_11PassThroughIiEEEEENS4_IJNS_8SequenceIJLi0EEEENSI_IJLi2EEEENSI_IJLi1EEEEEEENS4_IJNSI_IJLi1ELi2EEEENSI_IJLi3ELi4EEEENSI_IJLi5EEEEEEENSI_IJLi3ELi5ELi4EEEElEENS3_INS4_IJNS5_IS6_NS4_IJiS8_EEELb0EEESE_SG_EEENS4_IJSJ_SL_SK_EEESQ_SR_lEENS3_INS4_IJSU_SG_SG_EEESW_NS4_IJSN_NSI_IJLi3EEEENSI_IJLi4EEEEEEESO_lEELi128ELi128ELi16ELi2ELi4ELi4ELi1ENSI_IJLi8ELi2EEEES13_NSI_IJLi2ELi1ELi4ELi2EEEENSI_IJLi8ELi1ELi32ELi1EEEENSI_IJLi0ELi3ELi1ELi2EEEES16_NSI_IJLi1ELi1ELi4ELi1EEEES16_NSI_IJLi1ELi1ELi4ELi2EEEES14_S15_S16_S16_S17_S16_S18_NSI_IJLi0ELi1ELi2ELi3ELi4ELi5EEEELi5ELi4EEEDF16_DF16_NS3_INS4_IJSA_SE_SG_SG_NSB_INS4_IJiNS7_IiLi128EEEEEELb0EEENSF_ISC_EEEEENS4_IJSJ_SK_SL_SZ_SP_S10_EEENS4_IJSN_SO_SP_NSI_IJLi6EEEENSI_IJLi7ELi8EEEENSI_IJLi9EEEEEEENSI_IJLi6ELi7ELi8ELi9EEEElEENS3_INS4_IJSU_SE_SG_SG_S1D_S1E_EEENS4_IJSJ_SL_SK_SZ_SP_S10_EEES1K_S1L_lEENS3_INS4_IJSU_SG_SG_NSB_INS4_IJiSC_NS7_IiLi64EEEEEELb0EEES1S_EEENS4_IJSJ_SL_SK_SZ_S10_EEENS4_IJSN_SZ_S10_NSI_IJLi5ELi6ELi7EEEENSI_IJLi8ELi9ELi10EEEEEEENSI_IJLi5ELi6ELi7ELi8ELi9ELi10EEEElEENS_31BlockToCTileMap_M00_N00_M01_N01ILi128ELi128ES12_Lb0EEELb1ELb0EEEvPKT0_S24_PT1_T2_T3_T4_T5_: ; @_ZN2ck19kernel_gemm_dl_v1r3INS_28GridwiseGemmDl_km_kn_mn_v1r3ILi256EDF16_fDF16_LNS_25InMemoryDataOperationEnumE0ENS_16TensorDescriptorINS_5TupleIJNS_5EmbedINS4_IJiiEEENS4_IJNS_17integral_constantIiLi1EEEiEEELb0EEENS_7UnMergeINS4_IJiNS7_IiLi2EEEEEELb0EEENS_11PassThroughIiEEEEENS4_IJNS_8SequenceIJLi0EEEENSI_IJLi2EEEENSI_IJLi1EEEEEEENS4_IJNSI_IJLi1ELi2EEEENSI_IJLi3ELi4EEEENSI_IJLi5EEEEEEENSI_IJLi3ELi5ELi4EEEElEENS3_INS4_IJNS5_IS6_NS4_IJiS8_EEELb0EEESE_SG_EEENS4_IJSJ_SL_SK_EEESQ_SR_lEENS3_INS4_IJSU_SG_SG_EEESW_NS4_IJSN_NSI_IJLi3EEEENSI_IJLi4EEEEEEESO_lEELi128ELi128ELi16ELi2ELi4ELi4ELi1ENSI_IJLi8ELi2EEEES13_NSI_IJLi2ELi1ELi4ELi2EEEENSI_IJLi8ELi1ELi32ELi1EEEENSI_IJLi0ELi3ELi1ELi2EEEES16_NSI_IJLi1ELi1ELi4ELi1EEEES16_NSI_IJLi1ELi1ELi4ELi2EEEES14_S15_S16_S16_S17_S16_S18_NSI_IJLi0ELi1ELi2ELi3ELi4ELi5EEEELi5ELi4EEEDF16_DF16_NS3_INS4_IJSA_SE_SG_SG_NSB_INS4_IJiNS7_IiLi128EEEEEELb0EEENSF_ISC_EEEEENS4_IJSJ_SK_SL_SZ_SP_S10_EEENS4_IJSN_SO_SP_NSI_IJLi6EEEENSI_IJLi7ELi8EEEENSI_IJLi9EEEEEEENSI_IJLi6ELi7ELi8ELi9EEEElEENS3_INS4_IJSU_SE_SG_SG_S1D_S1E_EEENS4_IJSJ_SL_SK_SZ_SP_S10_EEES1K_S1L_lEENS3_INS4_IJSU_SG_SG_NSB_INS4_IJiSC_NS7_IiLi64EEEEEELb0EEES1S_EEENS4_IJSJ_SL_SK_SZ_S10_EEENS4_IJSN_SZ_S10_NSI_IJLi5ELi6ELi7EEEENSI_IJLi8ELi9ELi10EEEEEEENSI_IJLi5ELi6ELi7ELi8ELi9ELi10EEEElEENS_31BlockToCTileMap_M00_N00_M01_N01ILi128ELi128ES12_Lb0EEELb1ELb0EEEvPKT0_S24_PT1_T2_T3_T4_T5_
; %bb.0:
	s_load_dwordx4 s[12:15], s[0:1], 0x0
	s_load_dwordx2 s[4:5], s[0:1], 0x10
	s_load_dwordx8 s[20:27], s[0:1], 0x10c
	s_load_dword s38, s[0:1], 0x24
	s_load_dword s19, s[0:1], 0x38
	;; [unrolled: 1-line block ×6, first 2 shown]
	s_load_dwordx2 s[6:7], s[0:1], 0xd0
	s_waitcnt lgkmcnt(0)
	s_load_dword s7, s[0:1], 0xec
	s_load_dwordx4 s[8:11], s[0:1], 0x130
	s_mul_hi_u32 s17, s27, s2
	s_add_i32 s17, s2, s17
	s_load_dword s21, s[0:1], 0xfc
	s_load_dwordx4 s[40:43], s[0:1], 0x108
	v_lshrrev_b32_e32 v1, 4, v0
	s_waitcnt lgkmcnt(0)
	s_lshr_b32 s0, s17, s11
	s_mul_hi_u32 s1, s0, s26
	s_add_i32 s1, s0, s1
	s_lshr_b32 s1, s1, s10
	s_mul_hi_u32 s10, s1, s25
	s_add_i32 s10, s1, s10
	s_lshr_b32 s9, s10, s9
	s_mul_i32 s11, s0, s22
	s_sub_i32 s2, s2, s11
	s_mul_hi_u32 s11, s9, s24
	s_add_i32 s11, s9, s11
	s_lshr_b32 s8, s11, s8
	s_mul_i32 s10, s9, s20
	s_mul_i32 s8, s8, s40
	s_sub_i32 s10, s1, s10
	s_mul_i32 s1, s1, s42
	s_sub_i32 s8, s9, s8
	s_sub_i32 s0, s0, s1
	s_mul_i32 s8, s8, s7
	s_add_i32 s29, s0, s8
	v_lshlrev_b32_e32 v4, 2, v0
	v_and_b32_e32 v1, 14, v1
	v_and_b32_e32 v22, 0x7c, v4
	s_lshl_b32 s7, s29, 7
	s_mul_i32 s10, s10, s21
	v_or_b32_e32 v2, s7, v22
	v_lshlrev_b32_e32 v5, 1, v1
	s_add_i32 s20, s2, s10
	v_mad_u64_u32 v[2:3], s[0:1], s38, v5, v[2:3]
	s_lshl_b32 s17, s20, 7
	v_mul_lo_u32 v3, s28, v5
	v_add3_u32 v3, v3, v22, s17
	s_lshl_b32 s2, s3, 1
	s_mov_b32 s3, 0x20000
	s_and_b32 s1, s13, 0xffff
	v_lshlrev_b32_e32 v5, 1, v2
	v_add_u32_e32 v14, s38, v2
	s_lshl_b32 s10, s18, 1
	s_and_b32 s9, s15, 0xffff
	s_mov_b32 s8, s14
	s_mov_b32 s11, s3
	v_lshlrev_b32_e32 v16, 1, v3
	v_add_u32_e32 v18, s28, v3
	s_lshl_b32 s13, s38, 1
	s_mov_b32 s0, s12
	v_lshlrev_b32_e32 v15, 1, v14
	v_lshlrev_b32_e32 v17, 1, v18
	buffer_load_dwordx2 v[6:7], v16, s[8:11], 0 offen
	buffer_load_dwordx2 v[8:9], v17, s[8:11], 0 offen
	;; [unrolled: 1-line block ×4, first 2 shown]
	v_add_lshl_u32 v5, v14, s13, 1
	v_add_lshl_u32 v2, s13, v2, 1
	buffer_load_dwordx2 v[14:15], v5, s[0:3], 0 offen
	buffer_load_dwordx2 v[16:17], v2, s[0:3], 0 offen
	s_lshl_b32 s0, s28, 1
	v_add_lshl_u32 v2, v18, s0, 1
	v_add_lshl_u32 v3, s0, v3, 1
	buffer_load_dwordx2 v[18:19], v2, s[8:11], 0 offen
	buffer_load_dwordx2 v[20:21], v3, s[8:11], 0 offen
	s_lshl_b32 s0, s20, 8
	s_mul_i32 s8, s28, 0x84
	s_add_i32 s20, s0, s8
	s_mul_i32 s8, s28, 0x86
	s_add_i32 s22, s0, s8
	s_mul_i32 s8, s28, 0x82
	v_lshrrev_b32_e32 v23, 5, v0
	v_lshlrev_b32_e32 v2, 1, v0
	s_add_i32 s23, s0, s8
	s_mul_i32 s8, s28, 0x44
	v_lshlrev_b32_e32 v3, 6, v23
	v_and_b32_e32 v5, 0x1f8, v2
	s_add_i32 s25, s0, s8
	s_mul_i32 s8, s28, 0x46
	s_mov_b32 s15, 0x7060302
	s_mov_b32 s18, 0x5040100
	v_lshlrev_b32_e32 v24, 3, v23
	v_sub_u32_e32 v3, v5, v3
	s_add_i32 s26, s0, s8
	s_mul_i32 s8, s28, 0x42
	v_and_or_b32 v42, v2, 4, v24
	v_and_or_b32 v40, v4, 4, v3
	s_lshl_b32 s21, s28, 7
	s_add_i32 s27, s0, s8
	s_lshl_b32 s8, s28, 6
	s_add_i32 s24, s0, s21
	v_and_b32_e32 v0, 31, v0
	s_lshl_b32 s30, s38, 7
	s_mov_b32 s13, 0
	v_lshlrev_b32_e32 v98, 2, v42
	v_lshlrev_b32_e32 v99, 2, v40
	s_sub_i32 s19, s19, 32
	v_mov_b32_e32 v32, 0
	v_mov_b32_e32 v43, 0
	;; [unrolled: 1-line block ×38, first 2 shown]
	s_waitcnt vmcnt(6)
	v_perm_b32 v5, v9, v7, s15
	v_perm_b32 v3, v8, v6, s15
	v_perm_b32 v2, v8, v6, s18
	v_perm_b32 v4, v9, v7, s18
	s_waitcnt vmcnt(4)
	v_perm_b32 v9, v13, v11, s15
	v_perm_b32 v7, v12, v10, s15
	v_perm_b32 v6, v12, v10, s18
	v_perm_b32 v8, v13, v11, s18
	s_waitcnt vmcnt(2)
	v_perm_b32 v13, v15, v17, s15
	v_perm_b32 v11, v14, v16, s15
	v_perm_b32 v10, v14, v16, s18
	v_perm_b32 v12, v15, v17, s18
	s_waitcnt vmcnt(0)
	v_perm_b32 v15, v18, v20, s15
	v_perm_b32 v14, v18, v20, s18
	v_lshlrev_b32_e32 v18, 2, v22
	v_lshl_or_b32 v100, v1, 9, v18
	v_mul_lo_u32 v1, s28, v23
	s_add_i32 s28, s0, s8
	s_lshl_b32 s0, s29, 8
	s_mul_i32 s8, s38, 0x84
	s_add_i32 s29, s0, s8
	s_mul_i32 s8, s38, 0x86
	s_add_i32 s31, s0, s8
	;; [unrolled: 2-line block ×5, first 2 shown]
	s_mul_i32 s8, s38, 0x42
	v_add_lshl_u32 v101, v1, v0, 3
	v_mul_lo_u32 v1, s38, v23
	s_add_i32 s37, s0, s8
	s_lshl_b32 s8, s38, 6
	v_add_lshl_u32 v102, v1, v0, 3
	s_add_i32 s34, s0, s30
	s_add_i32 s38, s0, s8
	s_mov_b32 s0, s12
	s_mov_b32 s8, s14
	v_mov_b32_e32 v91, 0
	v_mov_b32_e32 v92, 0
	;; [unrolled: 1-line block ×26, first 2 shown]
	v_perm_b32 v17, v19, v21, s15
	v_perm_b32 v16, v19, v21, s18
	ds_write_b128 v100, v[6:9]
	ds_write_b128 v100, v[10:13] offset:512
	ds_write_b128 v100, v[2:5] offset:16384
	ds_write_b128 v100, v[14:17] offset:16896
.LBB2_1:                                ; =>This Inner Loop Header: Depth=1
	v_add_u32_e32 v16, s38, v102
	v_add_u32_e32 v17, s37, v102
	;; [unrolled: 1-line block ×8, first 2 shown]
	buffer_load_dwordx2 v[8:9], v16, s[0:3], 0 offen
	buffer_load_dwordx2 v[10:11], v17, s[0:3], 0 offen
	;; [unrolled: 1-line block ×8, first 2 shown]
	s_waitcnt lgkmcnt(0)
	s_barrier
	ds_read_b128 v[16:19], v98
	ds_read_b128 v[20:23], v99 offset:16384
	ds_read_b128 v[24:27], v99 offset:16640
	;; [unrolled: 1-line block ×3, first 2 shown]
	s_add_i32 s13, s13, 32
	s_add_i32 s25, s25, s21
	s_waitcnt lgkmcnt(2)
	v_dot2c_f32_f16_e32 v97, v16, v20
	v_dot2c_f32_f16_e32 v96, v16, v21
	v_dot2c_f32_f16_e32 v95, v16, v22
	v_dot2c_f32_f16_e32 v94, v16, v23
	v_dot2c_f32_f16_e32 v85, v17, v20
	v_dot2c_f32_f16_e32 v84, v17, v21
	v_dot2c_f32_f16_e32 v83, v17, v22
	v_dot2c_f32_f16_e32 v82, v17, v23
	v_dot2c_f32_f16_e32 v75, v18, v20
	v_dot2c_f32_f16_e32 v73, v18, v21
	v_dot2c_f32_f16_e32 v72, v18, v22
	v_dot2c_f32_f16_e32 v70, v18, v23
	v_dot2c_f32_f16_e32 v53, v19, v20
	v_dot2c_f32_f16_e32 v52, v19, v21
	v_dot2c_f32_f16_e32 v51, v19, v22
	v_dot2c_f32_f16_e32 v50, v19, v23
	s_waitcnt lgkmcnt(1)
	v_dot2c_f32_f16_e32 v93, v16, v24
	v_dot2c_f32_f16_e32 v92, v16, v25
	v_dot2c_f32_f16_e32 v91, v16, v26
	v_dot2c_f32_f16_e32 v90, v16, v27
	v_dot2c_f32_f16_e32 v89, v17, v24
	v_dot2c_f32_f16_e32 v88, v17, v25
	v_dot2c_f32_f16_e32 v87, v17, v26
	v_dot2c_f32_f16_e32 v86, v17, v27
	v_dot2c_f32_f16_e32 v69, v18, v24
	v_dot2c_f32_f16_e32 v68, v18, v25
	v_dot2c_f32_f16_e32 v67, v18, v26
	v_dot2c_f32_f16_e32 v65, v18, v27
	v_dot2c_f32_f16_e32 v59, v19, v24
	v_dot2c_f32_f16_e32 v58, v19, v25
	v_dot2c_f32_f16_e32 v57, v19, v26
	v_dot2c_f32_f16_e32 v55, v19, v27
	;; [unrolled: 17-line block ×3, first 2 shown]
	v_dot2c_f32_f16_e32 v41, v28, v24
	v_dot2c_f32_f16_e32 v39, v28, v25
	;; [unrolled: 1-line block ×16, first 2 shown]
	ds_read_b128 v[16:19], v98 offset:512
	ds_read_b128 v[20:23], v99 offset:16896
	;; [unrolled: 1-line block ×4, first 2 shown]
	s_add_i32 s26, s26, s21
	s_add_i32 s27, s27, s21
	s_waitcnt lgkmcnt(2)
	v_dot2c_f32_f16_e32 v97, v16, v20
	v_dot2c_f32_f16_e32 v96, v16, v21
	v_dot2c_f32_f16_e32 v95, v16, v22
	v_dot2c_f32_f16_e32 v94, v16, v23
	v_dot2c_f32_f16_e32 v85, v17, v20
	v_dot2c_f32_f16_e32 v84, v17, v21
	v_dot2c_f32_f16_e32 v83, v17, v22
	v_dot2c_f32_f16_e32 v82, v17, v23
	v_dot2c_f32_f16_e32 v75, v18, v20
	v_dot2c_f32_f16_e32 v73, v18, v21
	v_dot2c_f32_f16_e32 v72, v18, v22
	v_dot2c_f32_f16_e32 v70, v18, v23
	v_dot2c_f32_f16_e32 v53, v19, v20
	v_dot2c_f32_f16_e32 v52, v19, v21
	v_dot2c_f32_f16_e32 v51, v19, v22
	v_dot2c_f32_f16_e32 v50, v19, v23
	s_waitcnt lgkmcnt(1)
	v_dot2c_f32_f16_e32 v93, v16, v24
	v_dot2c_f32_f16_e32 v92, v16, v25
	v_dot2c_f32_f16_e32 v91, v16, v26
	v_dot2c_f32_f16_e32 v90, v16, v27
	v_dot2c_f32_f16_e32 v89, v17, v24
	v_dot2c_f32_f16_e32 v88, v17, v25
	v_dot2c_f32_f16_e32 v87, v17, v26
	v_dot2c_f32_f16_e32 v86, v17, v27
	v_dot2c_f32_f16_e32 v69, v18, v24
	v_dot2c_f32_f16_e32 v68, v18, v25
	v_dot2c_f32_f16_e32 v67, v18, v26
	v_dot2c_f32_f16_e32 v65, v18, v27
	v_dot2c_f32_f16_e32 v59, v19, v24
	v_dot2c_f32_f16_e32 v58, v19, v25
	v_dot2c_f32_f16_e32 v57, v19, v26
	v_dot2c_f32_f16_e32 v55, v19, v27
	;; [unrolled: 17-line block ×3, first 2 shown]
	v_dot2c_f32_f16_e32 v41, v28, v24
	v_dot2c_f32_f16_e32 v39, v28, v25
	v_dot2c_f32_f16_e32 v38, v28, v26
	v_dot2c_f32_f16_e32 v36, v28, v27
	v_dot2c_f32_f16_e32 v32, v29, v24
	v_dot2c_f32_f16_e32 v47, v29, v25
	v_dot2c_f32_f16_e32 v48, v29, v26
	v_dot2c_f32_f16_e32 v49, v29, v27
	v_dot2c_f32_f16_e32 v62, v30, v24
	v_dot2c_f32_f16_e32 v63, v30, v25
	v_dot2c_f32_f16_e32 v64, v30, v26
	v_dot2c_f32_f16_e32 v66, v30, v27
	v_dot2c_f32_f16_e32 v71, v31, v24
	v_dot2c_f32_f16_e32 v74, v31, v25
	v_dot2c_f32_f16_e32 v77, v31, v26
	v_dot2c_f32_f16_e32 v79, v31, v27
	ds_read_b128 v[16:19], v98 offset:1024
	ds_read_b128 v[20:23], v99 offset:17408
	;; [unrolled: 1-line block ×4, first 2 shown]
	s_add_i32 s28, s28, s21
	s_add_i32 s35, s35, s30
	s_waitcnt lgkmcnt(2)
	v_dot2c_f32_f16_e32 v97, v16, v20
	v_dot2c_f32_f16_e32 v96, v16, v21
	v_dot2c_f32_f16_e32 v95, v16, v22
	v_dot2c_f32_f16_e32 v94, v16, v23
	v_dot2c_f32_f16_e32 v85, v17, v20
	v_dot2c_f32_f16_e32 v84, v17, v21
	v_dot2c_f32_f16_e32 v83, v17, v22
	v_dot2c_f32_f16_e32 v82, v17, v23
	v_dot2c_f32_f16_e32 v75, v18, v20
	v_dot2c_f32_f16_e32 v73, v18, v21
	v_dot2c_f32_f16_e32 v72, v18, v22
	v_dot2c_f32_f16_e32 v70, v18, v23
	v_dot2c_f32_f16_e32 v53, v19, v20
	v_dot2c_f32_f16_e32 v52, v19, v21
	v_dot2c_f32_f16_e32 v51, v19, v22
	v_dot2c_f32_f16_e32 v50, v19, v23
	s_waitcnt lgkmcnt(1)
	v_dot2c_f32_f16_e32 v93, v16, v24
	v_dot2c_f32_f16_e32 v92, v16, v25
	v_dot2c_f32_f16_e32 v91, v16, v26
	v_dot2c_f32_f16_e32 v90, v16, v27
	v_dot2c_f32_f16_e32 v89, v17, v24
	v_dot2c_f32_f16_e32 v88, v17, v25
	v_dot2c_f32_f16_e32 v87, v17, v26
	v_dot2c_f32_f16_e32 v86, v17, v27
	v_dot2c_f32_f16_e32 v69, v18, v24
	v_dot2c_f32_f16_e32 v68, v18, v25
	v_dot2c_f32_f16_e32 v67, v18, v26
	v_dot2c_f32_f16_e32 v65, v18, v27
	v_dot2c_f32_f16_e32 v59, v19, v24
	v_dot2c_f32_f16_e32 v58, v19, v25
	v_dot2c_f32_f16_e32 v57, v19, v26
	v_dot2c_f32_f16_e32 v55, v19, v27
	;; [unrolled: 17-line block ×3, first 2 shown]
	v_dot2c_f32_f16_e32 v41, v28, v24
	v_dot2c_f32_f16_e32 v39, v28, v25
	;; [unrolled: 1-line block ×16, first 2 shown]
	ds_read_b128 v[16:19], v98 offset:1536
	ds_read_b128 v[20:23], v99 offset:17920
	;; [unrolled: 1-line block ×4, first 2 shown]
	s_add_i32 s36, s36, s30
	s_add_i32 s37, s37, s30
	s_waitcnt lgkmcnt(2)
	v_dot2c_f32_f16_e32 v97, v16, v20
	v_dot2c_f32_f16_e32 v96, v16, v21
	v_dot2c_f32_f16_e32 v95, v16, v22
	v_dot2c_f32_f16_e32 v94, v16, v23
	v_dot2c_f32_f16_e32 v85, v17, v20
	v_dot2c_f32_f16_e32 v84, v17, v21
	v_dot2c_f32_f16_e32 v83, v17, v22
	v_dot2c_f32_f16_e32 v82, v17, v23
	v_dot2c_f32_f16_e32 v75, v18, v20
	v_dot2c_f32_f16_e32 v73, v18, v21
	v_dot2c_f32_f16_e32 v72, v18, v22
	v_dot2c_f32_f16_e32 v70, v18, v23
	v_dot2c_f32_f16_e32 v53, v19, v20
	v_dot2c_f32_f16_e32 v52, v19, v21
	v_dot2c_f32_f16_e32 v51, v19, v22
	v_dot2c_f32_f16_e32 v50, v19, v23
	s_waitcnt lgkmcnt(1)
	v_dot2c_f32_f16_e32 v93, v16, v24
	v_dot2c_f32_f16_e32 v92, v16, v25
	v_dot2c_f32_f16_e32 v91, v16, v26
	v_dot2c_f32_f16_e32 v90, v16, v27
	v_dot2c_f32_f16_e32 v89, v17, v24
	v_dot2c_f32_f16_e32 v88, v17, v25
	v_dot2c_f32_f16_e32 v87, v17, v26
	v_dot2c_f32_f16_e32 v86, v17, v27
	v_dot2c_f32_f16_e32 v69, v18, v24
	v_dot2c_f32_f16_e32 v68, v18, v25
	v_dot2c_f32_f16_e32 v67, v18, v26
	v_dot2c_f32_f16_e32 v65, v18, v27
	v_dot2c_f32_f16_e32 v59, v19, v24
	v_dot2c_f32_f16_e32 v58, v19, v25
	v_dot2c_f32_f16_e32 v57, v19, v26
	v_dot2c_f32_f16_e32 v55, v19, v27
	;; [unrolled: 17-line block ×3, first 2 shown]
	v_dot2c_f32_f16_e32 v41, v28, v24
	v_dot2c_f32_f16_e32 v39, v28, v25
	;; [unrolled: 1-line block ×16, first 2 shown]
	ds_read_b128 v[16:19], v98 offset:2048
	ds_read_b128 v[20:23], v99 offset:18432
	;; [unrolled: 1-line block ×4, first 2 shown]
	s_add_i32 s38, s38, s30
	s_waitcnt lgkmcnt(2)
	v_dot2c_f32_f16_e32 v97, v16, v20
	v_dot2c_f32_f16_e32 v96, v16, v21
	v_dot2c_f32_f16_e32 v95, v16, v22
	v_dot2c_f32_f16_e32 v94, v16, v23
	v_dot2c_f32_f16_e32 v85, v17, v20
	v_dot2c_f32_f16_e32 v84, v17, v21
	v_dot2c_f32_f16_e32 v83, v17, v22
	v_dot2c_f32_f16_e32 v82, v17, v23
	v_dot2c_f32_f16_e32 v75, v18, v20
	v_dot2c_f32_f16_e32 v73, v18, v21
	v_dot2c_f32_f16_e32 v72, v18, v22
	v_dot2c_f32_f16_e32 v70, v18, v23
	v_dot2c_f32_f16_e32 v53, v19, v20
	v_dot2c_f32_f16_e32 v52, v19, v21
	v_dot2c_f32_f16_e32 v51, v19, v22
	v_dot2c_f32_f16_e32 v50, v19, v23
	s_waitcnt lgkmcnt(1)
	v_dot2c_f32_f16_e32 v93, v16, v24
	v_dot2c_f32_f16_e32 v92, v16, v25
	v_dot2c_f32_f16_e32 v91, v16, v26
	v_dot2c_f32_f16_e32 v90, v16, v27
	v_dot2c_f32_f16_e32 v89, v17, v24
	v_dot2c_f32_f16_e32 v88, v17, v25
	v_dot2c_f32_f16_e32 v87, v17, v26
	v_dot2c_f32_f16_e32 v86, v17, v27
	v_dot2c_f32_f16_e32 v69, v18, v24
	v_dot2c_f32_f16_e32 v68, v18, v25
	v_dot2c_f32_f16_e32 v67, v18, v26
	v_dot2c_f32_f16_e32 v65, v18, v27
	v_dot2c_f32_f16_e32 v59, v19, v24
	v_dot2c_f32_f16_e32 v58, v19, v25
	v_dot2c_f32_f16_e32 v57, v19, v26
	v_dot2c_f32_f16_e32 v55, v19, v27
	;; [unrolled: 17-line block ×3, first 2 shown]
	v_dot2c_f32_f16_e32 v41, v28, v24
	v_dot2c_f32_f16_e32 v39, v28, v25
	;; [unrolled: 1-line block ×16, first 2 shown]
	ds_read_b128 v[16:19], v98 offset:2560
	ds_read_b128 v[20:23], v99 offset:18944
	;; [unrolled: 1-line block ×4, first 2 shown]
	s_waitcnt lgkmcnt(2)
	v_dot2c_f32_f16_e32 v97, v16, v20
	v_dot2c_f32_f16_e32 v96, v16, v21
	v_dot2c_f32_f16_e32 v95, v16, v22
	v_dot2c_f32_f16_e32 v94, v16, v23
	v_dot2c_f32_f16_e32 v85, v17, v20
	v_dot2c_f32_f16_e32 v84, v17, v21
	v_dot2c_f32_f16_e32 v83, v17, v22
	v_dot2c_f32_f16_e32 v82, v17, v23
	v_dot2c_f32_f16_e32 v75, v18, v20
	v_dot2c_f32_f16_e32 v73, v18, v21
	v_dot2c_f32_f16_e32 v72, v18, v22
	v_dot2c_f32_f16_e32 v70, v18, v23
	v_dot2c_f32_f16_e32 v53, v19, v20
	v_dot2c_f32_f16_e32 v52, v19, v21
	v_dot2c_f32_f16_e32 v51, v19, v22
	v_dot2c_f32_f16_e32 v50, v19, v23
	s_waitcnt lgkmcnt(1)
	v_dot2c_f32_f16_e32 v93, v16, v24
	v_dot2c_f32_f16_e32 v92, v16, v25
	v_dot2c_f32_f16_e32 v91, v16, v26
	v_dot2c_f32_f16_e32 v90, v16, v27
	v_dot2c_f32_f16_e32 v89, v17, v24
	v_dot2c_f32_f16_e32 v88, v17, v25
	v_dot2c_f32_f16_e32 v87, v17, v26
	v_dot2c_f32_f16_e32 v86, v17, v27
	v_dot2c_f32_f16_e32 v69, v18, v24
	v_dot2c_f32_f16_e32 v68, v18, v25
	v_dot2c_f32_f16_e32 v67, v18, v26
	v_dot2c_f32_f16_e32 v65, v18, v27
	v_dot2c_f32_f16_e32 v59, v19, v24
	v_dot2c_f32_f16_e32 v58, v19, v25
	v_dot2c_f32_f16_e32 v57, v19, v26
	v_dot2c_f32_f16_e32 v55, v19, v27
	;; [unrolled: 17-line block ×3, first 2 shown]
	v_dot2c_f32_f16_e32 v41, v28, v24
	v_dot2c_f32_f16_e32 v39, v28, v25
	;; [unrolled: 1-line block ×16, first 2 shown]
	ds_read_b128 v[16:19], v98 offset:3072
	ds_read_b128 v[20:23], v99 offset:19456
	;; [unrolled: 1-line block ×4, first 2 shown]
	s_waitcnt lgkmcnt(2)
	v_dot2c_f32_f16_e32 v97, v16, v20
	v_dot2c_f32_f16_e32 v96, v16, v21
	v_dot2c_f32_f16_e32 v95, v16, v22
	v_dot2c_f32_f16_e32 v94, v16, v23
	v_dot2c_f32_f16_e32 v85, v17, v20
	v_dot2c_f32_f16_e32 v84, v17, v21
	v_dot2c_f32_f16_e32 v83, v17, v22
	v_dot2c_f32_f16_e32 v82, v17, v23
	v_dot2c_f32_f16_e32 v75, v18, v20
	v_dot2c_f32_f16_e32 v73, v18, v21
	v_dot2c_f32_f16_e32 v72, v18, v22
	v_dot2c_f32_f16_e32 v70, v18, v23
	v_dot2c_f32_f16_e32 v53, v19, v20
	v_dot2c_f32_f16_e32 v52, v19, v21
	v_dot2c_f32_f16_e32 v51, v19, v22
	v_dot2c_f32_f16_e32 v50, v19, v23
	s_waitcnt lgkmcnt(1)
	v_dot2c_f32_f16_e32 v93, v16, v24
	v_dot2c_f32_f16_e32 v92, v16, v25
	v_dot2c_f32_f16_e32 v91, v16, v26
	v_dot2c_f32_f16_e32 v90, v16, v27
	v_dot2c_f32_f16_e32 v89, v17, v24
	v_dot2c_f32_f16_e32 v88, v17, v25
	v_dot2c_f32_f16_e32 v87, v17, v26
	v_dot2c_f32_f16_e32 v86, v17, v27
	v_dot2c_f32_f16_e32 v69, v18, v24
	v_dot2c_f32_f16_e32 v68, v18, v25
	v_dot2c_f32_f16_e32 v67, v18, v26
	v_dot2c_f32_f16_e32 v65, v18, v27
	v_dot2c_f32_f16_e32 v59, v19, v24
	v_dot2c_f32_f16_e32 v58, v19, v25
	v_dot2c_f32_f16_e32 v57, v19, v26
	v_dot2c_f32_f16_e32 v55, v19, v27
	;; [unrolled: 17-line block ×3, first 2 shown]
	v_dot2c_f32_f16_e32 v41, v28, v24
	v_dot2c_f32_f16_e32 v39, v28, v25
	;; [unrolled: 1-line block ×16, first 2 shown]
	ds_read_b128 v[16:19], v98 offset:3584
	ds_read_b128 v[20:23], v99 offset:19968
	;; [unrolled: 1-line block ×4, first 2 shown]
	s_waitcnt lgkmcnt(2)
	v_dot2c_f32_f16_e32 v97, v16, v20
	v_dot2c_f32_f16_e32 v96, v16, v21
	v_dot2c_f32_f16_e32 v95, v16, v22
	v_dot2c_f32_f16_e32 v94, v16, v23
	v_dot2c_f32_f16_e32 v85, v17, v20
	v_dot2c_f32_f16_e32 v84, v17, v21
	v_dot2c_f32_f16_e32 v83, v17, v22
	v_dot2c_f32_f16_e32 v82, v17, v23
	v_dot2c_f32_f16_e32 v75, v18, v20
	v_dot2c_f32_f16_e32 v73, v18, v21
	v_dot2c_f32_f16_e32 v72, v18, v22
	v_dot2c_f32_f16_e32 v70, v18, v23
	v_dot2c_f32_f16_e32 v53, v19, v20
	v_dot2c_f32_f16_e32 v52, v19, v21
	v_dot2c_f32_f16_e32 v51, v19, v22
	v_dot2c_f32_f16_e32 v50, v19, v23
	s_waitcnt lgkmcnt(1)
	v_dot2c_f32_f16_e32 v93, v16, v24
	v_dot2c_f32_f16_e32 v92, v16, v25
	v_dot2c_f32_f16_e32 v91, v16, v26
	v_dot2c_f32_f16_e32 v90, v16, v27
	v_dot2c_f32_f16_e32 v89, v17, v24
	v_dot2c_f32_f16_e32 v88, v17, v25
	v_dot2c_f32_f16_e32 v87, v17, v26
	v_dot2c_f32_f16_e32 v86, v17, v27
	v_dot2c_f32_f16_e32 v69, v18, v24
	v_dot2c_f32_f16_e32 v68, v18, v25
	v_dot2c_f32_f16_e32 v67, v18, v26
	v_dot2c_f32_f16_e32 v65, v18, v27
	v_dot2c_f32_f16_e32 v59, v19, v24
	v_dot2c_f32_f16_e32 v58, v19, v25
	v_dot2c_f32_f16_e32 v57, v19, v26
	v_dot2c_f32_f16_e32 v55, v19, v27
	;; [unrolled: 17-line block ×3, first 2 shown]
	v_dot2c_f32_f16_e32 v41, v28, v24
	v_dot2c_f32_f16_e32 v39, v28, v25
	;; [unrolled: 1-line block ×16, first 2 shown]
	ds_read_b128 v[16:19], v98 offset:4096
	ds_read_b128 v[20:23], v99 offset:20480
	;; [unrolled: 1-line block ×4, first 2 shown]
	s_waitcnt lgkmcnt(2)
	v_dot2c_f32_f16_e32 v97, v16, v20
	v_dot2c_f32_f16_e32 v96, v16, v21
	v_dot2c_f32_f16_e32 v95, v16, v22
	v_dot2c_f32_f16_e32 v94, v16, v23
	v_dot2c_f32_f16_e32 v85, v17, v20
	v_dot2c_f32_f16_e32 v84, v17, v21
	v_dot2c_f32_f16_e32 v83, v17, v22
	v_dot2c_f32_f16_e32 v82, v17, v23
	v_dot2c_f32_f16_e32 v75, v18, v20
	v_dot2c_f32_f16_e32 v73, v18, v21
	v_dot2c_f32_f16_e32 v72, v18, v22
	v_dot2c_f32_f16_e32 v70, v18, v23
	v_dot2c_f32_f16_e32 v53, v19, v20
	v_dot2c_f32_f16_e32 v52, v19, v21
	v_dot2c_f32_f16_e32 v51, v19, v22
	v_dot2c_f32_f16_e32 v50, v19, v23
	s_waitcnt lgkmcnt(1)
	v_dot2c_f32_f16_e32 v93, v16, v24
	v_dot2c_f32_f16_e32 v92, v16, v25
	v_dot2c_f32_f16_e32 v91, v16, v26
	v_dot2c_f32_f16_e32 v90, v16, v27
	v_dot2c_f32_f16_e32 v89, v17, v24
	v_dot2c_f32_f16_e32 v88, v17, v25
	v_dot2c_f32_f16_e32 v87, v17, v26
	v_dot2c_f32_f16_e32 v86, v17, v27
	v_dot2c_f32_f16_e32 v69, v18, v24
	v_dot2c_f32_f16_e32 v68, v18, v25
	v_dot2c_f32_f16_e32 v67, v18, v26
	v_dot2c_f32_f16_e32 v65, v18, v27
	v_dot2c_f32_f16_e32 v59, v19, v24
	v_dot2c_f32_f16_e32 v58, v19, v25
	v_dot2c_f32_f16_e32 v57, v19, v26
	v_dot2c_f32_f16_e32 v55, v19, v27
	;; [unrolled: 17-line block ×3, first 2 shown]
	v_dot2c_f32_f16_e32 v41, v28, v24
	v_dot2c_f32_f16_e32 v39, v28, v25
	;; [unrolled: 1-line block ×16, first 2 shown]
	ds_read_b128 v[16:19], v98 offset:4608
	ds_read_b128 v[20:23], v99 offset:20992
	;; [unrolled: 1-line block ×4, first 2 shown]
	s_waitcnt lgkmcnt(2)
	v_dot2c_f32_f16_e32 v97, v16, v20
	v_dot2c_f32_f16_e32 v96, v16, v21
	v_dot2c_f32_f16_e32 v95, v16, v22
	v_dot2c_f32_f16_e32 v94, v16, v23
	v_dot2c_f32_f16_e32 v85, v17, v20
	v_dot2c_f32_f16_e32 v84, v17, v21
	v_dot2c_f32_f16_e32 v83, v17, v22
	v_dot2c_f32_f16_e32 v82, v17, v23
	v_dot2c_f32_f16_e32 v75, v18, v20
	v_dot2c_f32_f16_e32 v73, v18, v21
	v_dot2c_f32_f16_e32 v72, v18, v22
	v_dot2c_f32_f16_e32 v70, v18, v23
	v_dot2c_f32_f16_e32 v53, v19, v20
	v_dot2c_f32_f16_e32 v52, v19, v21
	v_dot2c_f32_f16_e32 v51, v19, v22
	v_dot2c_f32_f16_e32 v50, v19, v23
	s_waitcnt lgkmcnt(1)
	v_dot2c_f32_f16_e32 v93, v16, v24
	v_dot2c_f32_f16_e32 v92, v16, v25
	v_dot2c_f32_f16_e32 v91, v16, v26
	v_dot2c_f32_f16_e32 v90, v16, v27
	v_dot2c_f32_f16_e32 v89, v17, v24
	v_dot2c_f32_f16_e32 v88, v17, v25
	v_dot2c_f32_f16_e32 v87, v17, v26
	v_dot2c_f32_f16_e32 v86, v17, v27
	v_dot2c_f32_f16_e32 v69, v18, v24
	v_dot2c_f32_f16_e32 v68, v18, v25
	v_dot2c_f32_f16_e32 v67, v18, v26
	v_dot2c_f32_f16_e32 v65, v18, v27
	v_dot2c_f32_f16_e32 v59, v19, v24
	v_dot2c_f32_f16_e32 v58, v19, v25
	v_dot2c_f32_f16_e32 v57, v19, v26
	v_dot2c_f32_f16_e32 v55, v19, v27
	;; [unrolled: 17-line block ×3, first 2 shown]
	v_dot2c_f32_f16_e32 v41, v28, v24
	v_dot2c_f32_f16_e32 v39, v28, v25
	;; [unrolled: 1-line block ×16, first 2 shown]
	ds_read_b128 v[16:19], v98 offset:5120
	ds_read_b128 v[20:23], v99 offset:21504
	;; [unrolled: 1-line block ×4, first 2 shown]
	s_waitcnt lgkmcnt(2)
	v_dot2c_f32_f16_e32 v97, v16, v20
	v_dot2c_f32_f16_e32 v96, v16, v21
	v_dot2c_f32_f16_e32 v95, v16, v22
	v_dot2c_f32_f16_e32 v94, v16, v23
	v_dot2c_f32_f16_e32 v85, v17, v20
	v_dot2c_f32_f16_e32 v84, v17, v21
	v_dot2c_f32_f16_e32 v83, v17, v22
	v_dot2c_f32_f16_e32 v82, v17, v23
	v_dot2c_f32_f16_e32 v75, v18, v20
	v_dot2c_f32_f16_e32 v73, v18, v21
	v_dot2c_f32_f16_e32 v72, v18, v22
	v_dot2c_f32_f16_e32 v70, v18, v23
	v_dot2c_f32_f16_e32 v53, v19, v20
	v_dot2c_f32_f16_e32 v52, v19, v21
	v_dot2c_f32_f16_e32 v51, v19, v22
	v_dot2c_f32_f16_e32 v50, v19, v23
	s_waitcnt lgkmcnt(1)
	v_dot2c_f32_f16_e32 v93, v16, v24
	v_dot2c_f32_f16_e32 v92, v16, v25
	v_dot2c_f32_f16_e32 v91, v16, v26
	v_dot2c_f32_f16_e32 v90, v16, v27
	v_dot2c_f32_f16_e32 v89, v17, v24
	v_dot2c_f32_f16_e32 v88, v17, v25
	v_dot2c_f32_f16_e32 v87, v17, v26
	v_dot2c_f32_f16_e32 v86, v17, v27
	v_dot2c_f32_f16_e32 v69, v18, v24
	v_dot2c_f32_f16_e32 v68, v18, v25
	v_dot2c_f32_f16_e32 v67, v18, v26
	v_dot2c_f32_f16_e32 v65, v18, v27
	v_dot2c_f32_f16_e32 v59, v19, v24
	v_dot2c_f32_f16_e32 v58, v19, v25
	v_dot2c_f32_f16_e32 v57, v19, v26
	v_dot2c_f32_f16_e32 v55, v19, v27
	;; [unrolled: 17-line block ×3, first 2 shown]
	v_dot2c_f32_f16_e32 v41, v28, v24
	v_dot2c_f32_f16_e32 v39, v28, v25
	;; [unrolled: 1-line block ×16, first 2 shown]
	ds_read_b128 v[16:19], v98 offset:5632
	ds_read_b128 v[20:23], v99 offset:22016
	;; [unrolled: 1-line block ×4, first 2 shown]
	s_waitcnt lgkmcnt(2)
	v_dot2c_f32_f16_e32 v97, v16, v20
	v_dot2c_f32_f16_e32 v96, v16, v21
	v_dot2c_f32_f16_e32 v95, v16, v22
	v_dot2c_f32_f16_e32 v94, v16, v23
	v_dot2c_f32_f16_e32 v85, v17, v20
	v_dot2c_f32_f16_e32 v84, v17, v21
	v_dot2c_f32_f16_e32 v83, v17, v22
	v_dot2c_f32_f16_e32 v82, v17, v23
	v_dot2c_f32_f16_e32 v75, v18, v20
	v_dot2c_f32_f16_e32 v73, v18, v21
	v_dot2c_f32_f16_e32 v72, v18, v22
	v_dot2c_f32_f16_e32 v70, v18, v23
	v_dot2c_f32_f16_e32 v53, v19, v20
	v_dot2c_f32_f16_e32 v52, v19, v21
	v_dot2c_f32_f16_e32 v51, v19, v22
	v_dot2c_f32_f16_e32 v50, v19, v23
	s_waitcnt lgkmcnt(1)
	v_dot2c_f32_f16_e32 v93, v16, v24
	v_dot2c_f32_f16_e32 v92, v16, v25
	v_dot2c_f32_f16_e32 v91, v16, v26
	v_dot2c_f32_f16_e32 v90, v16, v27
	v_dot2c_f32_f16_e32 v89, v17, v24
	v_dot2c_f32_f16_e32 v88, v17, v25
	v_dot2c_f32_f16_e32 v87, v17, v26
	v_dot2c_f32_f16_e32 v86, v17, v27
	v_dot2c_f32_f16_e32 v69, v18, v24
	v_dot2c_f32_f16_e32 v68, v18, v25
	v_dot2c_f32_f16_e32 v67, v18, v26
	v_dot2c_f32_f16_e32 v65, v18, v27
	v_dot2c_f32_f16_e32 v59, v19, v24
	v_dot2c_f32_f16_e32 v58, v19, v25
	v_dot2c_f32_f16_e32 v57, v19, v26
	v_dot2c_f32_f16_e32 v55, v19, v27
	;; [unrolled: 17-line block ×3, first 2 shown]
	v_dot2c_f32_f16_e32 v41, v28, v24
	v_dot2c_f32_f16_e32 v39, v28, v25
	v_dot2c_f32_f16_e32 v38, v28, v26
	v_dot2c_f32_f16_e32 v36, v28, v27
	v_dot2c_f32_f16_e32 v32, v29, v24
	v_dot2c_f32_f16_e32 v47, v29, v25
	v_dot2c_f32_f16_e32 v48, v29, v26
	v_dot2c_f32_f16_e32 v49, v29, v27
	v_dot2c_f32_f16_e32 v62, v30, v24
	v_dot2c_f32_f16_e32 v63, v30, v25
	v_dot2c_f32_f16_e32 v64, v30, v26
	v_dot2c_f32_f16_e32 v66, v30, v27
	v_dot2c_f32_f16_e32 v71, v31, v24
	v_dot2c_f32_f16_e32 v74, v31, v25
	v_dot2c_f32_f16_e32 v77, v31, v26
	v_dot2c_f32_f16_e32 v79, v31, v27
	ds_read_b128 v[16:19], v98 offset:6144
	ds_read_b128 v[20:23], v99 offset:22528
	;; [unrolled: 1-line block ×4, first 2 shown]
	s_waitcnt lgkmcnt(2)
	v_dot2c_f32_f16_e32 v97, v16, v20
	v_dot2c_f32_f16_e32 v96, v16, v21
	v_dot2c_f32_f16_e32 v95, v16, v22
	v_dot2c_f32_f16_e32 v94, v16, v23
	v_dot2c_f32_f16_e32 v85, v17, v20
	v_dot2c_f32_f16_e32 v84, v17, v21
	v_dot2c_f32_f16_e32 v83, v17, v22
	v_dot2c_f32_f16_e32 v82, v17, v23
	v_dot2c_f32_f16_e32 v75, v18, v20
	v_dot2c_f32_f16_e32 v73, v18, v21
	v_dot2c_f32_f16_e32 v72, v18, v22
	v_dot2c_f32_f16_e32 v70, v18, v23
	v_dot2c_f32_f16_e32 v53, v19, v20
	v_dot2c_f32_f16_e32 v52, v19, v21
	v_dot2c_f32_f16_e32 v51, v19, v22
	v_dot2c_f32_f16_e32 v50, v19, v23
	s_waitcnt lgkmcnt(1)
	v_dot2c_f32_f16_e32 v93, v16, v24
	v_dot2c_f32_f16_e32 v92, v16, v25
	v_dot2c_f32_f16_e32 v91, v16, v26
	v_dot2c_f32_f16_e32 v90, v16, v27
	v_dot2c_f32_f16_e32 v89, v17, v24
	v_dot2c_f32_f16_e32 v88, v17, v25
	v_dot2c_f32_f16_e32 v87, v17, v26
	v_dot2c_f32_f16_e32 v86, v17, v27
	v_dot2c_f32_f16_e32 v69, v18, v24
	v_dot2c_f32_f16_e32 v68, v18, v25
	v_dot2c_f32_f16_e32 v67, v18, v26
	v_dot2c_f32_f16_e32 v65, v18, v27
	v_dot2c_f32_f16_e32 v59, v19, v24
	v_dot2c_f32_f16_e32 v58, v19, v25
	v_dot2c_f32_f16_e32 v57, v19, v26
	v_dot2c_f32_f16_e32 v55, v19, v27
	;; [unrolled: 17-line block ×3, first 2 shown]
	v_dot2c_f32_f16_e32 v41, v28, v24
	v_dot2c_f32_f16_e32 v39, v28, v25
	;; [unrolled: 1-line block ×16, first 2 shown]
	ds_read_b128 v[16:19], v98 offset:6656
	ds_read_b128 v[20:23], v99 offset:23040
	;; [unrolled: 1-line block ×4, first 2 shown]
	s_waitcnt lgkmcnt(2)
	v_dot2c_f32_f16_e32 v97, v16, v20
	v_dot2c_f32_f16_e32 v96, v16, v21
	v_dot2c_f32_f16_e32 v95, v16, v22
	v_dot2c_f32_f16_e32 v94, v16, v23
	v_dot2c_f32_f16_e32 v85, v17, v20
	v_dot2c_f32_f16_e32 v84, v17, v21
	v_dot2c_f32_f16_e32 v83, v17, v22
	v_dot2c_f32_f16_e32 v82, v17, v23
	v_dot2c_f32_f16_e32 v75, v18, v20
	v_dot2c_f32_f16_e32 v73, v18, v21
	v_dot2c_f32_f16_e32 v72, v18, v22
	v_dot2c_f32_f16_e32 v70, v18, v23
	v_dot2c_f32_f16_e32 v53, v19, v20
	v_dot2c_f32_f16_e32 v52, v19, v21
	v_dot2c_f32_f16_e32 v51, v19, v22
	v_dot2c_f32_f16_e32 v50, v19, v23
	s_waitcnt lgkmcnt(1)
	v_dot2c_f32_f16_e32 v93, v16, v24
	v_dot2c_f32_f16_e32 v92, v16, v25
	v_dot2c_f32_f16_e32 v91, v16, v26
	v_dot2c_f32_f16_e32 v90, v16, v27
	v_dot2c_f32_f16_e32 v89, v17, v24
	v_dot2c_f32_f16_e32 v88, v17, v25
	v_dot2c_f32_f16_e32 v87, v17, v26
	v_dot2c_f32_f16_e32 v86, v17, v27
	v_dot2c_f32_f16_e32 v69, v18, v24
	v_dot2c_f32_f16_e32 v68, v18, v25
	v_dot2c_f32_f16_e32 v67, v18, v26
	v_dot2c_f32_f16_e32 v65, v18, v27
	v_dot2c_f32_f16_e32 v59, v19, v24
	v_dot2c_f32_f16_e32 v58, v19, v25
	v_dot2c_f32_f16_e32 v57, v19, v26
	v_dot2c_f32_f16_e32 v55, v19, v27
	;; [unrolled: 17-line block ×3, first 2 shown]
	v_dot2c_f32_f16_e32 v41, v28, v24
	v_dot2c_f32_f16_e32 v39, v28, v25
	;; [unrolled: 1-line block ×16, first 2 shown]
	ds_read_b128 v[16:19], v98 offset:7168
	ds_read_b128 v[20:23], v99 offset:23552
	;; [unrolled: 1-line block ×4, first 2 shown]
	s_waitcnt lgkmcnt(2)
	v_dot2c_f32_f16_e32 v97, v16, v20
	v_dot2c_f32_f16_e32 v96, v16, v21
	v_dot2c_f32_f16_e32 v95, v16, v22
	v_dot2c_f32_f16_e32 v94, v16, v23
	v_dot2c_f32_f16_e32 v85, v17, v20
	v_dot2c_f32_f16_e32 v84, v17, v21
	v_dot2c_f32_f16_e32 v83, v17, v22
	v_dot2c_f32_f16_e32 v82, v17, v23
	v_dot2c_f32_f16_e32 v75, v18, v20
	v_dot2c_f32_f16_e32 v73, v18, v21
	v_dot2c_f32_f16_e32 v72, v18, v22
	v_dot2c_f32_f16_e32 v70, v18, v23
	v_dot2c_f32_f16_e32 v53, v19, v20
	v_dot2c_f32_f16_e32 v52, v19, v21
	v_dot2c_f32_f16_e32 v51, v19, v22
	v_dot2c_f32_f16_e32 v50, v19, v23
	s_waitcnt lgkmcnt(1)
	v_dot2c_f32_f16_e32 v93, v16, v24
	v_dot2c_f32_f16_e32 v92, v16, v25
	v_dot2c_f32_f16_e32 v91, v16, v26
	v_dot2c_f32_f16_e32 v90, v16, v27
	v_dot2c_f32_f16_e32 v89, v17, v24
	v_dot2c_f32_f16_e32 v88, v17, v25
	v_dot2c_f32_f16_e32 v87, v17, v26
	v_dot2c_f32_f16_e32 v86, v17, v27
	v_dot2c_f32_f16_e32 v69, v18, v24
	v_dot2c_f32_f16_e32 v68, v18, v25
	v_dot2c_f32_f16_e32 v67, v18, v26
	v_dot2c_f32_f16_e32 v65, v18, v27
	v_dot2c_f32_f16_e32 v59, v19, v24
	v_dot2c_f32_f16_e32 v58, v19, v25
	v_dot2c_f32_f16_e32 v57, v19, v26
	v_dot2c_f32_f16_e32 v55, v19, v27
	;; [unrolled: 17-line block ×3, first 2 shown]
	v_dot2c_f32_f16_e32 v41, v28, v24
	v_dot2c_f32_f16_e32 v39, v28, v25
	;; [unrolled: 1-line block ×16, first 2 shown]
	ds_read_b128 v[16:19], v98 offset:7680
	ds_read_b128 v[20:23], v99 offset:24064
	;; [unrolled: 1-line block ×4, first 2 shown]
	s_waitcnt lgkmcnt(2)
	v_dot2c_f32_f16_e32 v95, v16, v22
	v_dot2c_f32_f16_e32 v94, v16, v23
	v_dot2c_f32_f16_e32 v83, v17, v22
	v_dot2c_f32_f16_e32 v82, v17, v23
	v_dot2c_f32_f16_e32 v72, v18, v22
	v_dot2c_f32_f16_e32 v70, v18, v23
	v_dot2c_f32_f16_e32 v51, v19, v22
	v_dot2c_f32_f16_e32 v50, v19, v23
	s_waitcnt lgkmcnt(1)
	v_dot2c_f32_f16_e32 v93, v16, v24
	v_dot2c_f32_f16_e32 v92, v16, v25
	v_dot2c_f32_f16_e32 v89, v17, v24
	v_dot2c_f32_f16_e32 v88, v17, v25
	v_dot2c_f32_f16_e32 v69, v18, v24
	v_dot2c_f32_f16_e32 v68, v18, v25
	v_dot2c_f32_f16_e32 v59, v19, v24
	v_dot2c_f32_f16_e32 v58, v19, v25
	;; [unrolled: 9-line block ×3, first 2 shown]
	v_dot2c_f32_f16_e32 v41, v28, v24
	v_dot2c_f32_f16_e32 v39, v28, v25
	;; [unrolled: 1-line block ×8, first 2 shown]
	s_waitcnt vmcnt(6)
	v_perm_b32 v25, v11, v9, s15
	v_perm_b32 v23, v10, v8, s15
	;; [unrolled: 1-line block ×4, first 2 shown]
	v_dot2c_f32_f16_e32 v75, v18, v20
	v_dot2c_f32_f16_e32 v73, v18, v21
	;; [unrolled: 1-line block ×4, first 2 shown]
	v_add_u32_e32 v18, s34, v102
	s_waitcnt vmcnt(4)
	v_perm_b32 v11, v5, v7, s15
	v_perm_b32 v9, v4, v6, s15
	;; [unrolled: 1-line block ×4, first 2 shown]
	ds_write_b128 v100, v[22:25] offset:8192
	v_dot2c_f32_f16_e32 v97, v16, v20
	v_dot2c_f32_f16_e32 v96, v16, v21
	;; [unrolled: 1-line block ×25, first 2 shown]
	v_add_u32_e32 v20, s33, v102
	v_add_u32_e32 v19, s31, v102
	s_waitcnt vmcnt(2)
	v_perm_b32 v7, v3, v1, s15
	v_perm_b32 v5, v2, v0, s15
	;; [unrolled: 1-line block ×4, first 2 shown]
	s_waitcnt vmcnt(0)
	v_perm_b32 v3, v13, v15, s15
	v_perm_b32 v1, v12, v14, s15
	;; [unrolled: 1-line block ×4, first 2 shown]
	v_add_u32_e32 v27, s29, v102
	v_add_u32_e32 v26, s24, v101
	;; [unrolled: 1-line block ×3, first 2 shown]
	buffer_load_dwordx2 v[14:15], v18, s[0:3], 0 offen
	buffer_load_dwordx2 v[16:17], v20, s[0:3], 0 offen
	;; [unrolled: 1-line block ×3, first 2 shown]
	ds_write_b128 v100, v[8:11] offset:8704
	v_dot2c_f32_f16_e32 v35, v28, v21
	v_dot2c_f32_f16_e32 v56, v30, v21
	;; [unrolled: 1-line block ×3, first 2 shown]
	v_add_u32_e32 v30, s23, v101
	v_add_u32_e32 v28, s22, v101
	buffer_load_dwordx2 v[24:25], v27, s[0:3], 0 offen
	buffer_load_dwordx2 v[20:21], v26, s[8:11], 0 offen
	;; [unrolled: 1-line block ×4, first 2 shown]
	ds_write_b128 v100, v[4:7] offset:24576
	buffer_load_dwordx2 v[26:27], v29, s[8:11], 0 offen
	ds_write_b128 v100, v[0:3] offset:25088
	s_waitcnt lgkmcnt(0)
	s_barrier
	ds_read_b128 v[0:3], v98 offset:8192
	ds_read_b128 v[4:7], v99 offset:24576
	;; [unrolled: 1-line block ×4, first 2 shown]
	s_add_i32 s20, s20, s21
	s_add_i32 s22, s22, s21
	s_waitcnt lgkmcnt(2)
	v_dot2c_f32_f16_e32 v97, v0, v4
	v_dot2c_f32_f16_e32 v96, v0, v5
	v_dot2c_f32_f16_e32 v95, v0, v6
	v_dot2c_f32_f16_e32 v94, v0, v7
	v_dot2c_f32_f16_e32 v85, v1, v4
	v_dot2c_f32_f16_e32 v84, v1, v5
	v_dot2c_f32_f16_e32 v83, v1, v6
	v_dot2c_f32_f16_e32 v82, v1, v7
	v_dot2c_f32_f16_e32 v75, v2, v4
	v_dot2c_f32_f16_e32 v73, v2, v5
	v_dot2c_f32_f16_e32 v72, v2, v6
	v_dot2c_f32_f16_e32 v70, v2, v7
	v_dot2c_f32_f16_e32 v53, v3, v4
	v_dot2c_f32_f16_e32 v52, v3, v5
	v_dot2c_f32_f16_e32 v51, v3, v6
	v_dot2c_f32_f16_e32 v50, v3, v7
	s_waitcnt lgkmcnt(1)
	v_dot2c_f32_f16_e32 v93, v0, v8
	v_dot2c_f32_f16_e32 v92, v0, v9
	v_dot2c_f32_f16_e32 v91, v0, v10
	v_dot2c_f32_f16_e32 v90, v0, v11
	v_dot2c_f32_f16_e32 v89, v1, v8
	v_dot2c_f32_f16_e32 v88, v1, v9
	v_dot2c_f32_f16_e32 v87, v1, v10
	v_dot2c_f32_f16_e32 v86, v1, v11
	v_dot2c_f32_f16_e32 v69, v2, v8
	v_dot2c_f32_f16_e32 v68, v2, v9
	v_dot2c_f32_f16_e32 v67, v2, v10
	v_dot2c_f32_f16_e32 v65, v2, v11
	v_dot2c_f32_f16_e32 v59, v3, v8
	v_dot2c_f32_f16_e32 v58, v3, v9
	v_dot2c_f32_f16_e32 v57, v3, v10
	v_dot2c_f32_f16_e32 v55, v3, v11
	;; [unrolled: 17-line block ×3, first 2 shown]
	v_dot2c_f32_f16_e32 v41, v28, v8
	v_dot2c_f32_f16_e32 v39, v28, v9
	;; [unrolled: 1-line block ×16, first 2 shown]
	ds_read_b128 v[0:3], v98 offset:8704
	ds_read_b128 v[4:7], v99 offset:25088
	;; [unrolled: 1-line block ×4, first 2 shown]
	s_add_i32 s23, s23, s21
	s_add_i32 s24, s24, s21
	s_waitcnt lgkmcnt(2)
	v_dot2c_f32_f16_e32 v97, v0, v4
	v_dot2c_f32_f16_e32 v96, v0, v5
	v_dot2c_f32_f16_e32 v95, v0, v6
	v_dot2c_f32_f16_e32 v94, v0, v7
	v_dot2c_f32_f16_e32 v85, v1, v4
	v_dot2c_f32_f16_e32 v84, v1, v5
	v_dot2c_f32_f16_e32 v83, v1, v6
	v_dot2c_f32_f16_e32 v82, v1, v7
	v_dot2c_f32_f16_e32 v75, v2, v4
	v_dot2c_f32_f16_e32 v73, v2, v5
	v_dot2c_f32_f16_e32 v72, v2, v6
	v_dot2c_f32_f16_e32 v70, v2, v7
	v_dot2c_f32_f16_e32 v53, v3, v4
	v_dot2c_f32_f16_e32 v52, v3, v5
	v_dot2c_f32_f16_e32 v51, v3, v6
	v_dot2c_f32_f16_e32 v50, v3, v7
	s_waitcnt lgkmcnt(1)
	v_dot2c_f32_f16_e32 v93, v0, v8
	v_dot2c_f32_f16_e32 v92, v0, v9
	v_dot2c_f32_f16_e32 v91, v0, v10
	v_dot2c_f32_f16_e32 v90, v0, v11
	v_dot2c_f32_f16_e32 v89, v1, v8
	v_dot2c_f32_f16_e32 v88, v1, v9
	v_dot2c_f32_f16_e32 v87, v1, v10
	v_dot2c_f32_f16_e32 v86, v1, v11
	v_dot2c_f32_f16_e32 v69, v2, v8
	v_dot2c_f32_f16_e32 v68, v2, v9
	v_dot2c_f32_f16_e32 v67, v2, v10
	v_dot2c_f32_f16_e32 v65, v2, v11
	v_dot2c_f32_f16_e32 v59, v3, v8
	v_dot2c_f32_f16_e32 v58, v3, v9
	v_dot2c_f32_f16_e32 v57, v3, v10
	v_dot2c_f32_f16_e32 v55, v3, v11
	;; [unrolled: 17-line block ×3, first 2 shown]
	v_dot2c_f32_f16_e32 v41, v28, v8
	v_dot2c_f32_f16_e32 v39, v28, v9
	;; [unrolled: 1-line block ×16, first 2 shown]
	ds_read_b128 v[0:3], v98 offset:9216
	ds_read_b128 v[4:7], v99 offset:25600
	;; [unrolled: 1-line block ×4, first 2 shown]
	s_add_i32 s29, s29, s30
	s_add_i32 s31, s31, s30
	s_waitcnt lgkmcnt(2)
	v_dot2c_f32_f16_e32 v97, v0, v4
	v_dot2c_f32_f16_e32 v96, v0, v5
	v_dot2c_f32_f16_e32 v95, v0, v6
	v_dot2c_f32_f16_e32 v94, v0, v7
	v_dot2c_f32_f16_e32 v85, v1, v4
	v_dot2c_f32_f16_e32 v84, v1, v5
	v_dot2c_f32_f16_e32 v83, v1, v6
	v_dot2c_f32_f16_e32 v82, v1, v7
	v_dot2c_f32_f16_e32 v75, v2, v4
	v_dot2c_f32_f16_e32 v73, v2, v5
	v_dot2c_f32_f16_e32 v72, v2, v6
	v_dot2c_f32_f16_e32 v70, v2, v7
	v_dot2c_f32_f16_e32 v53, v3, v4
	v_dot2c_f32_f16_e32 v52, v3, v5
	v_dot2c_f32_f16_e32 v51, v3, v6
	v_dot2c_f32_f16_e32 v50, v3, v7
	s_waitcnt lgkmcnt(1)
	v_dot2c_f32_f16_e32 v93, v0, v8
	v_dot2c_f32_f16_e32 v92, v0, v9
	v_dot2c_f32_f16_e32 v91, v0, v10
	v_dot2c_f32_f16_e32 v90, v0, v11
	v_dot2c_f32_f16_e32 v89, v1, v8
	v_dot2c_f32_f16_e32 v88, v1, v9
	v_dot2c_f32_f16_e32 v87, v1, v10
	v_dot2c_f32_f16_e32 v86, v1, v11
	v_dot2c_f32_f16_e32 v69, v2, v8
	v_dot2c_f32_f16_e32 v68, v2, v9
	v_dot2c_f32_f16_e32 v67, v2, v10
	v_dot2c_f32_f16_e32 v65, v2, v11
	v_dot2c_f32_f16_e32 v59, v3, v8
	v_dot2c_f32_f16_e32 v58, v3, v9
	v_dot2c_f32_f16_e32 v57, v3, v10
	v_dot2c_f32_f16_e32 v55, v3, v11
	;; [unrolled: 17-line block ×3, first 2 shown]
	v_dot2c_f32_f16_e32 v41, v28, v8
	v_dot2c_f32_f16_e32 v39, v28, v9
	;; [unrolled: 1-line block ×16, first 2 shown]
	ds_read_b128 v[0:3], v98 offset:9728
	ds_read_b128 v[4:7], v99 offset:26112
	;; [unrolled: 1-line block ×4, first 2 shown]
	s_add_i32 s33, s33, s30
	s_add_i32 s34, s34, s30
	s_waitcnt lgkmcnt(2)
	v_dot2c_f32_f16_e32 v97, v0, v4
	v_dot2c_f32_f16_e32 v96, v0, v5
	v_dot2c_f32_f16_e32 v95, v0, v6
	v_dot2c_f32_f16_e32 v94, v0, v7
	v_dot2c_f32_f16_e32 v85, v1, v4
	v_dot2c_f32_f16_e32 v84, v1, v5
	v_dot2c_f32_f16_e32 v83, v1, v6
	v_dot2c_f32_f16_e32 v82, v1, v7
	v_dot2c_f32_f16_e32 v75, v2, v4
	v_dot2c_f32_f16_e32 v73, v2, v5
	v_dot2c_f32_f16_e32 v72, v2, v6
	v_dot2c_f32_f16_e32 v70, v2, v7
	v_dot2c_f32_f16_e32 v53, v3, v4
	v_dot2c_f32_f16_e32 v52, v3, v5
	v_dot2c_f32_f16_e32 v51, v3, v6
	v_dot2c_f32_f16_e32 v50, v3, v7
	s_waitcnt lgkmcnt(1)
	v_dot2c_f32_f16_e32 v93, v0, v8
	v_dot2c_f32_f16_e32 v92, v0, v9
	v_dot2c_f32_f16_e32 v91, v0, v10
	v_dot2c_f32_f16_e32 v90, v0, v11
	v_dot2c_f32_f16_e32 v89, v1, v8
	v_dot2c_f32_f16_e32 v88, v1, v9
	v_dot2c_f32_f16_e32 v87, v1, v10
	v_dot2c_f32_f16_e32 v86, v1, v11
	v_dot2c_f32_f16_e32 v69, v2, v8
	v_dot2c_f32_f16_e32 v68, v2, v9
	v_dot2c_f32_f16_e32 v67, v2, v10
	v_dot2c_f32_f16_e32 v65, v2, v11
	v_dot2c_f32_f16_e32 v59, v3, v8
	v_dot2c_f32_f16_e32 v58, v3, v9
	v_dot2c_f32_f16_e32 v57, v3, v10
	v_dot2c_f32_f16_e32 v55, v3, v11
	s_waitcnt lgkmcnt(0)
	v_dot2c_f32_f16_e32 v37, v28, v4
	v_dot2c_f32_f16_e32 v35, v28, v5
	v_dot2c_f32_f16_e32 v34, v28, v6
	v_dot2c_f32_f16_e32 v33, v28, v7
	v_dot2c_f32_f16_e32 v46, v29, v4
	v_dot2c_f32_f16_e32 v45, v29, v5
	v_dot2c_f32_f16_e32 v44, v29, v6
	v_dot2c_f32_f16_e32 v43, v29, v7
	v_dot2c_f32_f16_e32 v54, v30, v4
	v_dot2c_f32_f16_e32 v56, v30, v5
	v_dot2c_f32_f16_e32 v60, v30, v6
	v_dot2c_f32_f16_e32 v61, v30, v7
	v_dot2c_f32_f16_e32 v76, v31, v4
	v_dot2c_f32_f16_e32 v78, v31, v5
	v_dot2c_f32_f16_e32 v80, v31, v6
	v_dot2c_f32_f16_e32 v81, v31, v7
	v_dot2c_f32_f16_e32 v41, v28, v8
	v_dot2c_f32_f16_e32 v39, v28, v9
	v_dot2c_f32_f16_e32 v38, v28, v10
	v_dot2c_f32_f16_e32 v36, v28, v11
	v_dot2c_f32_f16_e32 v32, v29, v8
	v_dot2c_f32_f16_e32 v47, v29, v9
	v_dot2c_f32_f16_e32 v48, v29, v10
	v_dot2c_f32_f16_e32 v49, v29, v11
	v_dot2c_f32_f16_e32 v62, v30, v8
	v_dot2c_f32_f16_e32 v63, v30, v9
	v_dot2c_f32_f16_e32 v64, v30, v10
	v_dot2c_f32_f16_e32 v66, v30, v11
	v_dot2c_f32_f16_e32 v71, v31, v8
	v_dot2c_f32_f16_e32 v74, v31, v9
	v_dot2c_f32_f16_e32 v77, v31, v10
	v_dot2c_f32_f16_e32 v79, v31, v11
	ds_read_b128 v[0:3], v98 offset:10240
	ds_read_b128 v[4:7], v99 offset:26624
	;; [unrolled: 1-line block ×4, first 2 shown]
	s_cmp_lt_i32 s13, s19
	s_waitcnt lgkmcnt(2)
	v_dot2c_f32_f16_e32 v97, v0, v4
	v_dot2c_f32_f16_e32 v96, v0, v5
	v_dot2c_f32_f16_e32 v95, v0, v6
	v_dot2c_f32_f16_e32 v94, v0, v7
	v_dot2c_f32_f16_e32 v85, v1, v4
	v_dot2c_f32_f16_e32 v84, v1, v5
	v_dot2c_f32_f16_e32 v83, v1, v6
	v_dot2c_f32_f16_e32 v82, v1, v7
	v_dot2c_f32_f16_e32 v75, v2, v4
	v_dot2c_f32_f16_e32 v73, v2, v5
	v_dot2c_f32_f16_e32 v72, v2, v6
	v_dot2c_f32_f16_e32 v70, v2, v7
	v_dot2c_f32_f16_e32 v53, v3, v4
	v_dot2c_f32_f16_e32 v52, v3, v5
	v_dot2c_f32_f16_e32 v51, v3, v6
	v_dot2c_f32_f16_e32 v50, v3, v7
	s_waitcnt lgkmcnt(1)
	v_dot2c_f32_f16_e32 v93, v0, v8
	v_dot2c_f32_f16_e32 v92, v0, v9
	v_dot2c_f32_f16_e32 v91, v0, v10
	v_dot2c_f32_f16_e32 v90, v0, v11
	v_dot2c_f32_f16_e32 v89, v1, v8
	v_dot2c_f32_f16_e32 v88, v1, v9
	v_dot2c_f32_f16_e32 v87, v1, v10
	v_dot2c_f32_f16_e32 v86, v1, v11
	v_dot2c_f32_f16_e32 v69, v2, v8
	v_dot2c_f32_f16_e32 v68, v2, v9
	v_dot2c_f32_f16_e32 v67, v2, v10
	v_dot2c_f32_f16_e32 v65, v2, v11
	v_dot2c_f32_f16_e32 v59, v3, v8
	v_dot2c_f32_f16_e32 v58, v3, v9
	v_dot2c_f32_f16_e32 v57, v3, v10
	v_dot2c_f32_f16_e32 v55, v3, v11
	;; [unrolled: 17-line block ×3, first 2 shown]
	v_dot2c_f32_f16_e32 v41, v28, v8
	v_dot2c_f32_f16_e32 v39, v28, v9
	;; [unrolled: 1-line block ×16, first 2 shown]
	ds_read_b128 v[0:3], v98 offset:10752
	ds_read_b128 v[4:7], v99 offset:27136
	;; [unrolled: 1-line block ×4, first 2 shown]
	s_waitcnt lgkmcnt(2)
	v_dot2c_f32_f16_e32 v97, v0, v4
	v_dot2c_f32_f16_e32 v96, v0, v5
	v_dot2c_f32_f16_e32 v95, v0, v6
	v_dot2c_f32_f16_e32 v94, v0, v7
	v_dot2c_f32_f16_e32 v85, v1, v4
	v_dot2c_f32_f16_e32 v84, v1, v5
	v_dot2c_f32_f16_e32 v83, v1, v6
	v_dot2c_f32_f16_e32 v82, v1, v7
	v_dot2c_f32_f16_e32 v75, v2, v4
	v_dot2c_f32_f16_e32 v73, v2, v5
	v_dot2c_f32_f16_e32 v72, v2, v6
	v_dot2c_f32_f16_e32 v70, v2, v7
	v_dot2c_f32_f16_e32 v53, v3, v4
	v_dot2c_f32_f16_e32 v52, v3, v5
	v_dot2c_f32_f16_e32 v51, v3, v6
	v_dot2c_f32_f16_e32 v50, v3, v7
	s_waitcnt lgkmcnt(1)
	v_dot2c_f32_f16_e32 v93, v0, v8
	v_dot2c_f32_f16_e32 v92, v0, v9
	v_dot2c_f32_f16_e32 v91, v0, v10
	v_dot2c_f32_f16_e32 v90, v0, v11
	v_dot2c_f32_f16_e32 v89, v1, v8
	v_dot2c_f32_f16_e32 v88, v1, v9
	v_dot2c_f32_f16_e32 v87, v1, v10
	v_dot2c_f32_f16_e32 v86, v1, v11
	v_dot2c_f32_f16_e32 v69, v2, v8
	v_dot2c_f32_f16_e32 v68, v2, v9
	v_dot2c_f32_f16_e32 v67, v2, v10
	v_dot2c_f32_f16_e32 v65, v2, v11
	v_dot2c_f32_f16_e32 v59, v3, v8
	v_dot2c_f32_f16_e32 v58, v3, v9
	v_dot2c_f32_f16_e32 v57, v3, v10
	v_dot2c_f32_f16_e32 v55, v3, v11
	;; [unrolled: 17-line block ×3, first 2 shown]
	v_dot2c_f32_f16_e32 v41, v28, v8
	v_dot2c_f32_f16_e32 v39, v28, v9
	;; [unrolled: 1-line block ×16, first 2 shown]
	ds_read_b128 v[0:3], v98 offset:11264
	ds_read_b128 v[4:7], v99 offset:27648
	;; [unrolled: 1-line block ×4, first 2 shown]
	s_waitcnt lgkmcnt(2)
	v_dot2c_f32_f16_e32 v97, v0, v4
	v_dot2c_f32_f16_e32 v96, v0, v5
	v_dot2c_f32_f16_e32 v95, v0, v6
	v_dot2c_f32_f16_e32 v94, v0, v7
	v_dot2c_f32_f16_e32 v85, v1, v4
	v_dot2c_f32_f16_e32 v84, v1, v5
	v_dot2c_f32_f16_e32 v83, v1, v6
	v_dot2c_f32_f16_e32 v82, v1, v7
	v_dot2c_f32_f16_e32 v75, v2, v4
	v_dot2c_f32_f16_e32 v73, v2, v5
	v_dot2c_f32_f16_e32 v72, v2, v6
	v_dot2c_f32_f16_e32 v70, v2, v7
	v_dot2c_f32_f16_e32 v53, v3, v4
	v_dot2c_f32_f16_e32 v52, v3, v5
	v_dot2c_f32_f16_e32 v51, v3, v6
	v_dot2c_f32_f16_e32 v50, v3, v7
	s_waitcnt lgkmcnt(1)
	v_dot2c_f32_f16_e32 v93, v0, v8
	v_dot2c_f32_f16_e32 v92, v0, v9
	v_dot2c_f32_f16_e32 v91, v0, v10
	v_dot2c_f32_f16_e32 v90, v0, v11
	v_dot2c_f32_f16_e32 v89, v1, v8
	v_dot2c_f32_f16_e32 v88, v1, v9
	v_dot2c_f32_f16_e32 v87, v1, v10
	v_dot2c_f32_f16_e32 v86, v1, v11
	v_dot2c_f32_f16_e32 v69, v2, v8
	v_dot2c_f32_f16_e32 v68, v2, v9
	v_dot2c_f32_f16_e32 v67, v2, v10
	v_dot2c_f32_f16_e32 v65, v2, v11
	v_dot2c_f32_f16_e32 v59, v3, v8
	v_dot2c_f32_f16_e32 v58, v3, v9
	v_dot2c_f32_f16_e32 v57, v3, v10
	v_dot2c_f32_f16_e32 v55, v3, v11
	;; [unrolled: 17-line block ×3, first 2 shown]
	v_dot2c_f32_f16_e32 v41, v28, v8
	v_dot2c_f32_f16_e32 v39, v28, v9
	v_dot2c_f32_f16_e32 v38, v28, v10
	v_dot2c_f32_f16_e32 v36, v28, v11
	v_dot2c_f32_f16_e32 v32, v29, v8
	v_dot2c_f32_f16_e32 v47, v29, v9
	v_dot2c_f32_f16_e32 v48, v29, v10
	v_dot2c_f32_f16_e32 v49, v29, v11
	v_dot2c_f32_f16_e32 v62, v30, v8
	v_dot2c_f32_f16_e32 v63, v30, v9
	v_dot2c_f32_f16_e32 v64, v30, v10
	v_dot2c_f32_f16_e32 v66, v30, v11
	v_dot2c_f32_f16_e32 v71, v31, v8
	v_dot2c_f32_f16_e32 v74, v31, v9
	v_dot2c_f32_f16_e32 v77, v31, v10
	v_dot2c_f32_f16_e32 v79, v31, v11
	ds_read_b128 v[0:3], v98 offset:11776
	ds_read_b128 v[4:7], v99 offset:28160
	;; [unrolled: 1-line block ×4, first 2 shown]
	s_waitcnt lgkmcnt(2)
	v_dot2c_f32_f16_e32 v97, v0, v4
	v_dot2c_f32_f16_e32 v96, v0, v5
	v_dot2c_f32_f16_e32 v95, v0, v6
	v_dot2c_f32_f16_e32 v94, v0, v7
	v_dot2c_f32_f16_e32 v85, v1, v4
	v_dot2c_f32_f16_e32 v84, v1, v5
	v_dot2c_f32_f16_e32 v83, v1, v6
	v_dot2c_f32_f16_e32 v82, v1, v7
	v_dot2c_f32_f16_e32 v75, v2, v4
	v_dot2c_f32_f16_e32 v73, v2, v5
	v_dot2c_f32_f16_e32 v72, v2, v6
	v_dot2c_f32_f16_e32 v70, v2, v7
	v_dot2c_f32_f16_e32 v53, v3, v4
	v_dot2c_f32_f16_e32 v52, v3, v5
	v_dot2c_f32_f16_e32 v51, v3, v6
	v_dot2c_f32_f16_e32 v50, v3, v7
	s_waitcnt lgkmcnt(1)
	v_dot2c_f32_f16_e32 v93, v0, v8
	v_dot2c_f32_f16_e32 v92, v0, v9
	v_dot2c_f32_f16_e32 v91, v0, v10
	v_dot2c_f32_f16_e32 v90, v0, v11
	v_dot2c_f32_f16_e32 v89, v1, v8
	v_dot2c_f32_f16_e32 v88, v1, v9
	v_dot2c_f32_f16_e32 v87, v1, v10
	v_dot2c_f32_f16_e32 v86, v1, v11
	v_dot2c_f32_f16_e32 v69, v2, v8
	v_dot2c_f32_f16_e32 v68, v2, v9
	v_dot2c_f32_f16_e32 v67, v2, v10
	v_dot2c_f32_f16_e32 v65, v2, v11
	v_dot2c_f32_f16_e32 v59, v3, v8
	v_dot2c_f32_f16_e32 v58, v3, v9
	v_dot2c_f32_f16_e32 v57, v3, v10
	v_dot2c_f32_f16_e32 v55, v3, v11
	;; [unrolled: 17-line block ×3, first 2 shown]
	v_dot2c_f32_f16_e32 v41, v28, v8
	v_dot2c_f32_f16_e32 v39, v28, v9
	;; [unrolled: 1-line block ×16, first 2 shown]
	ds_read_b128 v[0:3], v98 offset:12288
	ds_read_b128 v[4:7], v99 offset:28672
	;; [unrolled: 1-line block ×4, first 2 shown]
	s_waitcnt lgkmcnt(2)
	v_dot2c_f32_f16_e32 v97, v0, v4
	v_dot2c_f32_f16_e32 v96, v0, v5
	v_dot2c_f32_f16_e32 v95, v0, v6
	v_dot2c_f32_f16_e32 v94, v0, v7
	v_dot2c_f32_f16_e32 v85, v1, v4
	v_dot2c_f32_f16_e32 v84, v1, v5
	v_dot2c_f32_f16_e32 v83, v1, v6
	v_dot2c_f32_f16_e32 v82, v1, v7
	v_dot2c_f32_f16_e32 v75, v2, v4
	v_dot2c_f32_f16_e32 v73, v2, v5
	v_dot2c_f32_f16_e32 v72, v2, v6
	v_dot2c_f32_f16_e32 v70, v2, v7
	v_dot2c_f32_f16_e32 v53, v3, v4
	v_dot2c_f32_f16_e32 v52, v3, v5
	v_dot2c_f32_f16_e32 v51, v3, v6
	v_dot2c_f32_f16_e32 v50, v3, v7
	s_waitcnt lgkmcnt(1)
	v_dot2c_f32_f16_e32 v93, v0, v8
	v_dot2c_f32_f16_e32 v92, v0, v9
	v_dot2c_f32_f16_e32 v91, v0, v10
	v_dot2c_f32_f16_e32 v90, v0, v11
	v_dot2c_f32_f16_e32 v89, v1, v8
	v_dot2c_f32_f16_e32 v88, v1, v9
	v_dot2c_f32_f16_e32 v87, v1, v10
	v_dot2c_f32_f16_e32 v86, v1, v11
	v_dot2c_f32_f16_e32 v69, v2, v8
	v_dot2c_f32_f16_e32 v68, v2, v9
	v_dot2c_f32_f16_e32 v67, v2, v10
	v_dot2c_f32_f16_e32 v65, v2, v11
	v_dot2c_f32_f16_e32 v59, v3, v8
	v_dot2c_f32_f16_e32 v58, v3, v9
	v_dot2c_f32_f16_e32 v57, v3, v10
	v_dot2c_f32_f16_e32 v55, v3, v11
	;; [unrolled: 17-line block ×3, first 2 shown]
	v_dot2c_f32_f16_e32 v41, v28, v8
	v_dot2c_f32_f16_e32 v39, v28, v9
	;; [unrolled: 1-line block ×16, first 2 shown]
	ds_read_b128 v[0:3], v98 offset:12800
	ds_read_b128 v[4:7], v99 offset:29184
	;; [unrolled: 1-line block ×4, first 2 shown]
	s_waitcnt lgkmcnt(2)
	v_dot2c_f32_f16_e32 v97, v0, v4
	v_dot2c_f32_f16_e32 v96, v0, v5
	v_dot2c_f32_f16_e32 v95, v0, v6
	v_dot2c_f32_f16_e32 v94, v0, v7
	v_dot2c_f32_f16_e32 v85, v1, v4
	v_dot2c_f32_f16_e32 v84, v1, v5
	v_dot2c_f32_f16_e32 v83, v1, v6
	v_dot2c_f32_f16_e32 v82, v1, v7
	v_dot2c_f32_f16_e32 v75, v2, v4
	v_dot2c_f32_f16_e32 v73, v2, v5
	v_dot2c_f32_f16_e32 v72, v2, v6
	v_dot2c_f32_f16_e32 v70, v2, v7
	v_dot2c_f32_f16_e32 v53, v3, v4
	v_dot2c_f32_f16_e32 v52, v3, v5
	v_dot2c_f32_f16_e32 v51, v3, v6
	v_dot2c_f32_f16_e32 v50, v3, v7
	s_waitcnt lgkmcnt(1)
	v_dot2c_f32_f16_e32 v93, v0, v8
	v_dot2c_f32_f16_e32 v92, v0, v9
	v_dot2c_f32_f16_e32 v91, v0, v10
	v_dot2c_f32_f16_e32 v90, v0, v11
	v_dot2c_f32_f16_e32 v89, v1, v8
	v_dot2c_f32_f16_e32 v88, v1, v9
	v_dot2c_f32_f16_e32 v87, v1, v10
	v_dot2c_f32_f16_e32 v86, v1, v11
	v_dot2c_f32_f16_e32 v69, v2, v8
	v_dot2c_f32_f16_e32 v68, v2, v9
	v_dot2c_f32_f16_e32 v67, v2, v10
	v_dot2c_f32_f16_e32 v65, v2, v11
	v_dot2c_f32_f16_e32 v59, v3, v8
	v_dot2c_f32_f16_e32 v58, v3, v9
	v_dot2c_f32_f16_e32 v57, v3, v10
	v_dot2c_f32_f16_e32 v55, v3, v11
	s_waitcnt lgkmcnt(0)
	v_dot2c_f32_f16_e32 v37, v28, v4
	v_dot2c_f32_f16_e32 v35, v28, v5
	v_dot2c_f32_f16_e32 v34, v28, v6
	v_dot2c_f32_f16_e32 v33, v28, v7
	v_dot2c_f32_f16_e32 v46, v29, v4
	v_dot2c_f32_f16_e32 v45, v29, v5
	v_dot2c_f32_f16_e32 v44, v29, v6
	v_dot2c_f32_f16_e32 v43, v29, v7
	v_dot2c_f32_f16_e32 v54, v30, v4
	v_dot2c_f32_f16_e32 v56, v30, v5
	v_dot2c_f32_f16_e32 v60, v30, v6
	v_dot2c_f32_f16_e32 v61, v30, v7
	v_dot2c_f32_f16_e32 v76, v31, v4
	v_dot2c_f32_f16_e32 v78, v31, v5
	v_dot2c_f32_f16_e32 v80, v31, v6
	v_dot2c_f32_f16_e32 v81, v31, v7
	v_dot2c_f32_f16_e32 v41, v28, v8
	v_dot2c_f32_f16_e32 v39, v28, v9
	;; [unrolled: 1-line block ×16, first 2 shown]
	ds_read_b128 v[0:3], v98 offset:13312
	ds_read_b128 v[4:7], v99 offset:29696
	;; [unrolled: 1-line block ×4, first 2 shown]
	s_waitcnt lgkmcnt(2)
	v_dot2c_f32_f16_e32 v97, v0, v4
	v_dot2c_f32_f16_e32 v96, v0, v5
	v_dot2c_f32_f16_e32 v95, v0, v6
	v_dot2c_f32_f16_e32 v94, v0, v7
	v_dot2c_f32_f16_e32 v85, v1, v4
	v_dot2c_f32_f16_e32 v84, v1, v5
	v_dot2c_f32_f16_e32 v83, v1, v6
	v_dot2c_f32_f16_e32 v82, v1, v7
	v_dot2c_f32_f16_e32 v75, v2, v4
	v_dot2c_f32_f16_e32 v73, v2, v5
	v_dot2c_f32_f16_e32 v72, v2, v6
	v_dot2c_f32_f16_e32 v70, v2, v7
	v_dot2c_f32_f16_e32 v53, v3, v4
	v_dot2c_f32_f16_e32 v52, v3, v5
	v_dot2c_f32_f16_e32 v51, v3, v6
	v_dot2c_f32_f16_e32 v50, v3, v7
	s_waitcnt lgkmcnt(1)
	v_dot2c_f32_f16_e32 v93, v0, v8
	v_dot2c_f32_f16_e32 v92, v0, v9
	v_dot2c_f32_f16_e32 v91, v0, v10
	v_dot2c_f32_f16_e32 v90, v0, v11
	v_dot2c_f32_f16_e32 v89, v1, v8
	v_dot2c_f32_f16_e32 v88, v1, v9
	v_dot2c_f32_f16_e32 v87, v1, v10
	v_dot2c_f32_f16_e32 v86, v1, v11
	v_dot2c_f32_f16_e32 v69, v2, v8
	v_dot2c_f32_f16_e32 v68, v2, v9
	v_dot2c_f32_f16_e32 v67, v2, v10
	v_dot2c_f32_f16_e32 v65, v2, v11
	v_dot2c_f32_f16_e32 v59, v3, v8
	v_dot2c_f32_f16_e32 v58, v3, v9
	v_dot2c_f32_f16_e32 v57, v3, v10
	v_dot2c_f32_f16_e32 v55, v3, v11
	;; [unrolled: 17-line block ×3, first 2 shown]
	v_dot2c_f32_f16_e32 v41, v28, v8
	v_dot2c_f32_f16_e32 v39, v28, v9
	;; [unrolled: 1-line block ×16, first 2 shown]
	ds_read_b128 v[0:3], v98 offset:13824
	ds_read_b128 v[4:7], v99 offset:30208
	;; [unrolled: 1-line block ×4, first 2 shown]
	s_waitcnt lgkmcnt(2)
	v_dot2c_f32_f16_e32 v97, v0, v4
	v_dot2c_f32_f16_e32 v96, v0, v5
	v_dot2c_f32_f16_e32 v95, v0, v6
	v_dot2c_f32_f16_e32 v94, v0, v7
	v_dot2c_f32_f16_e32 v85, v1, v4
	v_dot2c_f32_f16_e32 v84, v1, v5
	v_dot2c_f32_f16_e32 v83, v1, v6
	v_dot2c_f32_f16_e32 v82, v1, v7
	v_dot2c_f32_f16_e32 v75, v2, v4
	v_dot2c_f32_f16_e32 v73, v2, v5
	v_dot2c_f32_f16_e32 v72, v2, v6
	v_dot2c_f32_f16_e32 v70, v2, v7
	v_dot2c_f32_f16_e32 v53, v3, v4
	v_dot2c_f32_f16_e32 v52, v3, v5
	v_dot2c_f32_f16_e32 v51, v3, v6
	v_dot2c_f32_f16_e32 v50, v3, v7
	s_waitcnt lgkmcnt(1)
	v_dot2c_f32_f16_e32 v93, v0, v8
	v_dot2c_f32_f16_e32 v92, v0, v9
	v_dot2c_f32_f16_e32 v91, v0, v10
	v_dot2c_f32_f16_e32 v90, v0, v11
	v_dot2c_f32_f16_e32 v89, v1, v8
	v_dot2c_f32_f16_e32 v88, v1, v9
	v_dot2c_f32_f16_e32 v87, v1, v10
	v_dot2c_f32_f16_e32 v86, v1, v11
	v_dot2c_f32_f16_e32 v69, v2, v8
	v_dot2c_f32_f16_e32 v68, v2, v9
	v_dot2c_f32_f16_e32 v67, v2, v10
	v_dot2c_f32_f16_e32 v65, v2, v11
	v_dot2c_f32_f16_e32 v59, v3, v8
	v_dot2c_f32_f16_e32 v58, v3, v9
	v_dot2c_f32_f16_e32 v57, v3, v10
	v_dot2c_f32_f16_e32 v55, v3, v11
	;; [unrolled: 17-line block ×3, first 2 shown]
	v_dot2c_f32_f16_e32 v41, v28, v8
	v_dot2c_f32_f16_e32 v39, v28, v9
	;; [unrolled: 1-line block ×16, first 2 shown]
	ds_read_b128 v[0:3], v98 offset:14336
	ds_read_b128 v[4:7], v99 offset:30720
	ds_read_b128 v[8:11], v99 offset:30976
	ds_read_b128 v[28:31], v98 offset:14592
	s_waitcnt lgkmcnt(2)
	v_dot2c_f32_f16_e32 v97, v0, v4
	v_dot2c_f32_f16_e32 v96, v0, v5
	v_dot2c_f32_f16_e32 v95, v0, v6
	v_dot2c_f32_f16_e32 v94, v0, v7
	v_dot2c_f32_f16_e32 v85, v1, v4
	v_dot2c_f32_f16_e32 v84, v1, v5
	v_dot2c_f32_f16_e32 v83, v1, v6
	v_dot2c_f32_f16_e32 v82, v1, v7
	v_dot2c_f32_f16_e32 v75, v2, v4
	v_dot2c_f32_f16_e32 v73, v2, v5
	v_dot2c_f32_f16_e32 v72, v2, v6
	v_dot2c_f32_f16_e32 v70, v2, v7
	v_dot2c_f32_f16_e32 v53, v3, v4
	v_dot2c_f32_f16_e32 v52, v3, v5
	v_dot2c_f32_f16_e32 v51, v3, v6
	v_dot2c_f32_f16_e32 v50, v3, v7
	s_waitcnt lgkmcnt(1)
	v_dot2c_f32_f16_e32 v93, v0, v8
	v_dot2c_f32_f16_e32 v92, v0, v9
	v_dot2c_f32_f16_e32 v91, v0, v10
	v_dot2c_f32_f16_e32 v90, v0, v11
	v_dot2c_f32_f16_e32 v89, v1, v8
	v_dot2c_f32_f16_e32 v88, v1, v9
	v_dot2c_f32_f16_e32 v87, v1, v10
	v_dot2c_f32_f16_e32 v86, v1, v11
	v_dot2c_f32_f16_e32 v69, v2, v8
	v_dot2c_f32_f16_e32 v68, v2, v9
	v_dot2c_f32_f16_e32 v67, v2, v10
	v_dot2c_f32_f16_e32 v65, v2, v11
	v_dot2c_f32_f16_e32 v59, v3, v8
	v_dot2c_f32_f16_e32 v58, v3, v9
	v_dot2c_f32_f16_e32 v57, v3, v10
	v_dot2c_f32_f16_e32 v55, v3, v11
	;; [unrolled: 17-line block ×3, first 2 shown]
	v_dot2c_f32_f16_e32 v41, v28, v8
	v_dot2c_f32_f16_e32 v39, v28, v9
	;; [unrolled: 1-line block ×16, first 2 shown]
	ds_read_b128 v[0:3], v98 offset:14848
	ds_read_b128 v[4:7], v99 offset:31232
	ds_read_b128 v[8:11], v99 offset:31488
	ds_read_b128 v[28:31], v98 offset:15104
	s_waitcnt lgkmcnt(2)
	v_dot2c_f32_f16_e32 v97, v0, v4
	v_dot2c_f32_f16_e32 v96, v0, v5
	v_dot2c_f32_f16_e32 v95, v0, v6
	v_dot2c_f32_f16_e32 v94, v0, v7
	v_dot2c_f32_f16_e32 v85, v1, v4
	v_dot2c_f32_f16_e32 v84, v1, v5
	v_dot2c_f32_f16_e32 v83, v1, v6
	v_dot2c_f32_f16_e32 v82, v1, v7
	v_dot2c_f32_f16_e32 v75, v2, v4
	v_dot2c_f32_f16_e32 v73, v2, v5
	v_dot2c_f32_f16_e32 v72, v2, v6
	v_dot2c_f32_f16_e32 v70, v2, v7
	v_dot2c_f32_f16_e32 v53, v3, v4
	v_dot2c_f32_f16_e32 v52, v3, v5
	v_dot2c_f32_f16_e32 v51, v3, v6
	v_dot2c_f32_f16_e32 v50, v3, v7
	s_waitcnt lgkmcnt(1)
	v_dot2c_f32_f16_e32 v93, v0, v8
	v_dot2c_f32_f16_e32 v92, v0, v9
	v_dot2c_f32_f16_e32 v91, v0, v10
	v_dot2c_f32_f16_e32 v90, v0, v11
	v_dot2c_f32_f16_e32 v89, v1, v8
	v_dot2c_f32_f16_e32 v88, v1, v9
	v_dot2c_f32_f16_e32 v87, v1, v10
	v_dot2c_f32_f16_e32 v86, v1, v11
	v_dot2c_f32_f16_e32 v69, v2, v8
	v_dot2c_f32_f16_e32 v68, v2, v9
	v_dot2c_f32_f16_e32 v67, v2, v10
	v_dot2c_f32_f16_e32 v65, v2, v11
	v_dot2c_f32_f16_e32 v59, v3, v8
	v_dot2c_f32_f16_e32 v58, v3, v9
	v_dot2c_f32_f16_e32 v57, v3, v10
	v_dot2c_f32_f16_e32 v55, v3, v11
	;; [unrolled: 17-line block ×3, first 2 shown]
	v_dot2c_f32_f16_e32 v41, v28, v8
	v_dot2c_f32_f16_e32 v39, v28, v9
	;; [unrolled: 1-line block ×16, first 2 shown]
	ds_read_b128 v[0:3], v98 offset:15360
	ds_read_b128 v[4:7], v99 offset:31744
	ds_read_b128 v[8:11], v99 offset:32000
	ds_read_b128 v[28:31], v98 offset:15616
	s_waitcnt lgkmcnt(2)
	v_dot2c_f32_f16_e32 v97, v0, v4
	v_dot2c_f32_f16_e32 v96, v0, v5
	v_dot2c_f32_f16_e32 v95, v0, v6
	v_dot2c_f32_f16_e32 v94, v0, v7
	v_dot2c_f32_f16_e32 v85, v1, v4
	v_dot2c_f32_f16_e32 v84, v1, v5
	v_dot2c_f32_f16_e32 v83, v1, v6
	v_dot2c_f32_f16_e32 v82, v1, v7
	v_dot2c_f32_f16_e32 v75, v2, v4
	v_dot2c_f32_f16_e32 v73, v2, v5
	v_dot2c_f32_f16_e32 v72, v2, v6
	v_dot2c_f32_f16_e32 v70, v2, v7
	v_dot2c_f32_f16_e32 v53, v3, v4
	v_dot2c_f32_f16_e32 v52, v3, v5
	v_dot2c_f32_f16_e32 v51, v3, v6
	v_dot2c_f32_f16_e32 v50, v3, v7
	s_waitcnt lgkmcnt(1)
	v_dot2c_f32_f16_e32 v93, v0, v8
	v_dot2c_f32_f16_e32 v92, v0, v9
	v_dot2c_f32_f16_e32 v91, v0, v10
	v_dot2c_f32_f16_e32 v90, v0, v11
	v_dot2c_f32_f16_e32 v89, v1, v8
	v_dot2c_f32_f16_e32 v88, v1, v9
	v_dot2c_f32_f16_e32 v87, v1, v10
	v_dot2c_f32_f16_e32 v86, v1, v11
	v_dot2c_f32_f16_e32 v69, v2, v8
	v_dot2c_f32_f16_e32 v68, v2, v9
	v_dot2c_f32_f16_e32 v67, v2, v10
	v_dot2c_f32_f16_e32 v65, v2, v11
	v_dot2c_f32_f16_e32 v59, v3, v8
	v_dot2c_f32_f16_e32 v58, v3, v9
	v_dot2c_f32_f16_e32 v57, v3, v10
	v_dot2c_f32_f16_e32 v55, v3, v11
	;; [unrolled: 17-line block ×3, first 2 shown]
	v_dot2c_f32_f16_e32 v41, v28, v8
	v_dot2c_f32_f16_e32 v39, v28, v9
	;; [unrolled: 1-line block ×16, first 2 shown]
	s_waitcnt vmcnt(6)
	v_perm_b32 v7, v17, v15, s15
	v_perm_b32 v5, v16, v14, s15
	v_perm_b32 v4, v16, v14, s18
	v_perm_b32 v6, v17, v15, s18
	s_waitcnt vmcnt(4)
	v_perm_b32 v11, v13, v25, s15
	v_perm_b32 v9, v12, v24, s15
	v_perm_b32 v8, v12, v24, s18
	v_perm_b32 v10, v13, v25, s18
	;; [unrolled: 5-line block ×4, first 2 shown]
	ds_read_b128 v[24:27], v99 offset:32256
	ds_read_b128 v[16:19], v99 offset:32512
	;; [unrolled: 1-line block ×4, first 2 shown]
	ds_write_b128 v100, v[4:7]
	ds_write_b128 v100, v[8:11] offset:512
	ds_write_b128 v100, v[12:15] offset:16384
	;; [unrolled: 1-line block ×3, first 2 shown]
	s_waitcnt lgkmcnt(5)
	v_dot2c_f32_f16_e32 v97, v28, v24
	v_dot2c_f32_f16_e32 v96, v28, v25
	;; [unrolled: 1-line block ×32, first 2 shown]
	s_waitcnt lgkmcnt(4)
	v_dot2c_f32_f16_e32 v37, v20, v24
	v_dot2c_f32_f16_e32 v35, v20, v25
	;; [unrolled: 1-line block ×32, first 2 shown]
	s_cbranch_scc1 .LBB2_1
; %bb.2:
	s_waitcnt lgkmcnt(0)
	s_barrier
	ds_read_b128 v[0:3], v98
	ds_read_b128 v[4:7], v99 offset:16384
	ds_read_b128 v[8:11], v99 offset:16640
	;; [unrolled: 1-line block ×3, first 2 shown]
	s_lshl_b32 s6, s6, 1
	s_and_b32 s5, s5, 0xffff
	s_waitcnt lgkmcnt(2)
	v_dot2c_f32_f16_e32 v97, v0, v4
	v_dot2c_f32_f16_e32 v96, v0, v5
	;; [unrolled: 1-line block ×16, first 2 shown]
	s_waitcnt lgkmcnt(1)
	v_dot2c_f32_f16_e32 v93, v0, v8
	v_dot2c_f32_f16_e32 v92, v0, v9
	;; [unrolled: 1-line block ×16, first 2 shown]
	ds_read_b128 v[0:3], v98 offset:512
	s_waitcnt lgkmcnt(1)
	v_dot2c_f32_f16_e32 v37, v12, v4
	v_dot2c_f32_f16_e32 v35, v12, v5
	;; [unrolled: 1-line block ×16, first 2 shown]
	ds_read_b128 v[4:7], v99 offset:16896
	v_dot2c_f32_f16_e32 v41, v12, v8
	v_dot2c_f32_f16_e32 v39, v12, v9
	;; [unrolled: 1-line block ×16, first 2 shown]
	ds_read_b128 v[8:11], v99 offset:17152
	ds_read_b128 v[12:15], v98 offset:768
	s_waitcnt lgkmcnt(2)
	v_dot2c_f32_f16_e32 v97, v0, v4
	v_dot2c_f32_f16_e32 v96, v0, v5
	;; [unrolled: 1-line block ×16, first 2 shown]
	s_waitcnt lgkmcnt(1)
	v_dot2c_f32_f16_e32 v93, v0, v8
	v_dot2c_f32_f16_e32 v92, v0, v9
	;; [unrolled: 1-line block ×16, first 2 shown]
	ds_read_b128 v[0:3], v98 offset:1024
	s_waitcnt lgkmcnt(1)
	v_dot2c_f32_f16_e32 v37, v12, v4
	v_dot2c_f32_f16_e32 v35, v12, v5
	v_dot2c_f32_f16_e32 v34, v12, v6
	v_dot2c_f32_f16_e32 v33, v12, v7
	v_dot2c_f32_f16_e32 v46, v13, v4
	v_dot2c_f32_f16_e32 v45, v13, v5
	v_dot2c_f32_f16_e32 v44, v13, v6
	v_dot2c_f32_f16_e32 v43, v13, v7
	v_dot2c_f32_f16_e32 v54, v14, v4
	v_dot2c_f32_f16_e32 v56, v14, v5
	v_dot2c_f32_f16_e32 v60, v14, v6
	v_dot2c_f32_f16_e32 v61, v14, v7
	v_dot2c_f32_f16_e32 v76, v15, v4
	v_dot2c_f32_f16_e32 v78, v15, v5
	v_dot2c_f32_f16_e32 v80, v15, v6
	v_dot2c_f32_f16_e32 v81, v15, v7
	ds_read_b128 v[4:7], v99 offset:17408
	v_dot2c_f32_f16_e32 v41, v12, v8
	v_dot2c_f32_f16_e32 v39, v12, v9
	v_dot2c_f32_f16_e32 v38, v12, v10
	v_dot2c_f32_f16_e32 v36, v12, v11
	v_dot2c_f32_f16_e32 v32, v13, v8
	v_dot2c_f32_f16_e32 v47, v13, v9
	v_dot2c_f32_f16_e32 v48, v13, v10
	v_dot2c_f32_f16_e32 v49, v13, v11
	v_dot2c_f32_f16_e32 v62, v14, v8
	v_dot2c_f32_f16_e32 v63, v14, v9
	v_dot2c_f32_f16_e32 v64, v14, v10
	v_dot2c_f32_f16_e32 v66, v14, v11
	v_dot2c_f32_f16_e32 v71, v15, v8
	v_dot2c_f32_f16_e32 v74, v15, v9
	v_dot2c_f32_f16_e32 v77, v15, v10
	v_dot2c_f32_f16_e32 v79, v15, v11
	ds_read_b128 v[8:11], v99 offset:17664
	ds_read_b128 v[12:15], v98 offset:1280
	s_waitcnt lgkmcnt(2)
	v_dot2c_f32_f16_e32 v97, v0, v4
	v_dot2c_f32_f16_e32 v96, v0, v5
	;; [unrolled: 1-line block ×16, first 2 shown]
	s_waitcnt lgkmcnt(1)
	v_dot2c_f32_f16_e32 v93, v0, v8
	v_dot2c_f32_f16_e32 v92, v0, v9
	;; [unrolled: 1-line block ×16, first 2 shown]
	ds_read_b128 v[0:3], v98 offset:1536
	s_waitcnt lgkmcnt(1)
	v_dot2c_f32_f16_e32 v37, v12, v4
	v_dot2c_f32_f16_e32 v35, v12, v5
	;; [unrolled: 1-line block ×16, first 2 shown]
	ds_read_b128 v[4:7], v99 offset:17920
	v_dot2c_f32_f16_e32 v41, v12, v8
	v_dot2c_f32_f16_e32 v39, v12, v9
	;; [unrolled: 1-line block ×16, first 2 shown]
	ds_read_b128 v[8:11], v99 offset:18176
	ds_read_b128 v[12:15], v98 offset:1792
	s_waitcnt lgkmcnt(2)
	v_dot2c_f32_f16_e32 v97, v0, v4
	v_dot2c_f32_f16_e32 v96, v0, v5
	;; [unrolled: 1-line block ×16, first 2 shown]
	s_waitcnt lgkmcnt(1)
	v_dot2c_f32_f16_e32 v93, v0, v8
	v_dot2c_f32_f16_e32 v92, v0, v9
	;; [unrolled: 1-line block ×16, first 2 shown]
	ds_read_b128 v[0:3], v98 offset:2048
	s_waitcnt lgkmcnt(1)
	v_dot2c_f32_f16_e32 v37, v12, v4
	v_dot2c_f32_f16_e32 v35, v12, v5
	;; [unrolled: 1-line block ×16, first 2 shown]
	ds_read_b128 v[4:7], v99 offset:18432
	v_dot2c_f32_f16_e32 v41, v12, v8
	v_dot2c_f32_f16_e32 v39, v12, v9
	;; [unrolled: 1-line block ×16, first 2 shown]
	ds_read_b128 v[8:11], v99 offset:18688
	ds_read_b128 v[12:15], v98 offset:2304
	s_waitcnt lgkmcnt(2)
	v_dot2c_f32_f16_e32 v97, v0, v4
	v_dot2c_f32_f16_e32 v96, v0, v5
	;; [unrolled: 1-line block ×16, first 2 shown]
	s_waitcnt lgkmcnt(1)
	v_dot2c_f32_f16_e32 v93, v0, v8
	v_dot2c_f32_f16_e32 v92, v0, v9
	;; [unrolled: 1-line block ×16, first 2 shown]
	ds_read_b128 v[0:3], v98 offset:2560
	s_waitcnt lgkmcnt(1)
	v_dot2c_f32_f16_e32 v37, v12, v4
	v_dot2c_f32_f16_e32 v35, v12, v5
	;; [unrolled: 1-line block ×16, first 2 shown]
	ds_read_b128 v[4:7], v99 offset:18944
	v_dot2c_f32_f16_e32 v41, v12, v8
	v_dot2c_f32_f16_e32 v39, v12, v9
	;; [unrolled: 1-line block ×16, first 2 shown]
	ds_read_b128 v[8:11], v99 offset:19200
	ds_read_b128 v[12:15], v98 offset:2816
	s_waitcnt lgkmcnt(2)
	v_dot2c_f32_f16_e32 v97, v0, v4
	v_dot2c_f32_f16_e32 v96, v0, v5
	;; [unrolled: 1-line block ×16, first 2 shown]
	s_waitcnt lgkmcnt(1)
	v_dot2c_f32_f16_e32 v93, v0, v8
	v_dot2c_f32_f16_e32 v92, v0, v9
	;; [unrolled: 1-line block ×16, first 2 shown]
	ds_read_b128 v[0:3], v98 offset:3072
	s_waitcnt lgkmcnt(1)
	v_dot2c_f32_f16_e32 v37, v12, v4
	v_dot2c_f32_f16_e32 v35, v12, v5
	;; [unrolled: 1-line block ×16, first 2 shown]
	ds_read_b128 v[4:7], v99 offset:19456
	v_dot2c_f32_f16_e32 v41, v12, v8
	v_dot2c_f32_f16_e32 v39, v12, v9
	;; [unrolled: 1-line block ×16, first 2 shown]
	ds_read_b128 v[8:11], v99 offset:19712
	ds_read_b128 v[12:15], v98 offset:3328
	s_waitcnt lgkmcnt(2)
	v_dot2c_f32_f16_e32 v97, v0, v4
	v_dot2c_f32_f16_e32 v96, v0, v5
	;; [unrolled: 1-line block ×16, first 2 shown]
	s_waitcnt lgkmcnt(1)
	v_dot2c_f32_f16_e32 v93, v0, v8
	v_dot2c_f32_f16_e32 v92, v0, v9
	;; [unrolled: 1-line block ×16, first 2 shown]
	ds_read_b128 v[0:3], v98 offset:3584
	s_waitcnt lgkmcnt(1)
	v_dot2c_f32_f16_e32 v37, v12, v4
	v_dot2c_f32_f16_e32 v35, v12, v5
	;; [unrolled: 1-line block ×16, first 2 shown]
	ds_read_b128 v[4:7], v99 offset:19968
	v_dot2c_f32_f16_e32 v41, v12, v8
	v_dot2c_f32_f16_e32 v39, v12, v9
	;; [unrolled: 1-line block ×16, first 2 shown]
	ds_read_b128 v[8:11], v99 offset:20224
	ds_read_b128 v[12:15], v98 offset:3840
	s_waitcnt lgkmcnt(2)
	v_dot2c_f32_f16_e32 v97, v0, v4
	v_dot2c_f32_f16_e32 v96, v0, v5
	;; [unrolled: 1-line block ×16, first 2 shown]
	s_waitcnt lgkmcnt(1)
	v_dot2c_f32_f16_e32 v93, v0, v8
	v_dot2c_f32_f16_e32 v92, v0, v9
	;; [unrolled: 1-line block ×16, first 2 shown]
	ds_read_b128 v[0:3], v98 offset:4096
	s_waitcnt lgkmcnt(1)
	v_dot2c_f32_f16_e32 v37, v12, v4
	v_dot2c_f32_f16_e32 v35, v12, v5
	;; [unrolled: 1-line block ×16, first 2 shown]
	ds_read_b128 v[4:7], v99 offset:20480
	v_dot2c_f32_f16_e32 v41, v12, v8
	v_dot2c_f32_f16_e32 v39, v12, v9
	;; [unrolled: 1-line block ×16, first 2 shown]
	ds_read_b128 v[8:11], v99 offset:20736
	ds_read_b128 v[12:15], v98 offset:4352
	s_waitcnt lgkmcnt(2)
	v_dot2c_f32_f16_e32 v97, v0, v4
	v_dot2c_f32_f16_e32 v96, v0, v5
	;; [unrolled: 1-line block ×16, first 2 shown]
	s_waitcnt lgkmcnt(1)
	v_dot2c_f32_f16_e32 v93, v0, v8
	v_dot2c_f32_f16_e32 v92, v0, v9
	;; [unrolled: 1-line block ×16, first 2 shown]
	ds_read_b128 v[0:3], v98 offset:4608
	s_waitcnt lgkmcnt(1)
	v_dot2c_f32_f16_e32 v37, v12, v4
	v_dot2c_f32_f16_e32 v35, v12, v5
	;; [unrolled: 1-line block ×16, first 2 shown]
	ds_read_b128 v[4:7], v99 offset:20992
	v_dot2c_f32_f16_e32 v41, v12, v8
	v_dot2c_f32_f16_e32 v39, v12, v9
	;; [unrolled: 1-line block ×16, first 2 shown]
	ds_read_b128 v[8:11], v99 offset:21248
	ds_read_b128 v[12:15], v98 offset:4864
	s_waitcnt lgkmcnt(2)
	v_dot2c_f32_f16_e32 v97, v0, v4
	v_dot2c_f32_f16_e32 v96, v0, v5
	;; [unrolled: 1-line block ×16, first 2 shown]
	s_waitcnt lgkmcnt(1)
	v_dot2c_f32_f16_e32 v93, v0, v8
	v_dot2c_f32_f16_e32 v92, v0, v9
	;; [unrolled: 1-line block ×16, first 2 shown]
	ds_read_b128 v[0:3], v98 offset:5120
	s_waitcnt lgkmcnt(1)
	v_dot2c_f32_f16_e32 v37, v12, v4
	v_dot2c_f32_f16_e32 v35, v12, v5
	v_dot2c_f32_f16_e32 v34, v12, v6
	v_dot2c_f32_f16_e32 v33, v12, v7
	v_dot2c_f32_f16_e32 v46, v13, v4
	v_dot2c_f32_f16_e32 v45, v13, v5
	v_dot2c_f32_f16_e32 v44, v13, v6
	v_dot2c_f32_f16_e32 v43, v13, v7
	v_dot2c_f32_f16_e32 v54, v14, v4
	v_dot2c_f32_f16_e32 v56, v14, v5
	v_dot2c_f32_f16_e32 v60, v14, v6
	v_dot2c_f32_f16_e32 v61, v14, v7
	v_dot2c_f32_f16_e32 v76, v15, v4
	v_dot2c_f32_f16_e32 v78, v15, v5
	v_dot2c_f32_f16_e32 v80, v15, v6
	v_dot2c_f32_f16_e32 v81, v15, v7
	ds_read_b128 v[4:7], v99 offset:21504
	v_dot2c_f32_f16_e32 v41, v12, v8
	v_dot2c_f32_f16_e32 v39, v12, v9
	;; [unrolled: 1-line block ×16, first 2 shown]
	ds_read_b128 v[8:11], v99 offset:21760
	ds_read_b128 v[12:15], v98 offset:5376
	s_waitcnt lgkmcnt(2)
	v_dot2c_f32_f16_e32 v97, v0, v4
	v_dot2c_f32_f16_e32 v96, v0, v5
	;; [unrolled: 1-line block ×16, first 2 shown]
	s_waitcnt lgkmcnt(1)
	v_dot2c_f32_f16_e32 v93, v0, v8
	v_dot2c_f32_f16_e32 v92, v0, v9
	;; [unrolled: 1-line block ×16, first 2 shown]
	ds_read_b128 v[0:3], v98 offset:5632
	s_waitcnt lgkmcnt(1)
	v_dot2c_f32_f16_e32 v37, v12, v4
	v_dot2c_f32_f16_e32 v35, v12, v5
	v_dot2c_f32_f16_e32 v34, v12, v6
	v_dot2c_f32_f16_e32 v33, v12, v7
	v_dot2c_f32_f16_e32 v46, v13, v4
	v_dot2c_f32_f16_e32 v45, v13, v5
	v_dot2c_f32_f16_e32 v44, v13, v6
	v_dot2c_f32_f16_e32 v43, v13, v7
	v_dot2c_f32_f16_e32 v54, v14, v4
	v_dot2c_f32_f16_e32 v56, v14, v5
	v_dot2c_f32_f16_e32 v60, v14, v6
	v_dot2c_f32_f16_e32 v61, v14, v7
	v_dot2c_f32_f16_e32 v76, v15, v4
	v_dot2c_f32_f16_e32 v78, v15, v5
	v_dot2c_f32_f16_e32 v80, v15, v6
	v_dot2c_f32_f16_e32 v81, v15, v7
	ds_read_b128 v[4:7], v99 offset:22016
	v_dot2c_f32_f16_e32 v41, v12, v8
	v_dot2c_f32_f16_e32 v39, v12, v9
	;; [unrolled: 1-line block ×16, first 2 shown]
	ds_read_b128 v[8:11], v99 offset:22272
	ds_read_b128 v[12:15], v98 offset:5888
	s_waitcnt lgkmcnt(2)
	v_dot2c_f32_f16_e32 v97, v0, v4
	v_dot2c_f32_f16_e32 v96, v0, v5
	;; [unrolled: 1-line block ×16, first 2 shown]
	s_waitcnt lgkmcnt(1)
	v_dot2c_f32_f16_e32 v93, v0, v8
	v_dot2c_f32_f16_e32 v92, v0, v9
	;; [unrolled: 1-line block ×16, first 2 shown]
	ds_read_b128 v[0:3], v98 offset:6144
	s_waitcnt lgkmcnt(1)
	v_dot2c_f32_f16_e32 v37, v12, v4
	v_dot2c_f32_f16_e32 v35, v12, v5
	;; [unrolled: 1-line block ×16, first 2 shown]
	ds_read_b128 v[4:7], v99 offset:22528
	v_dot2c_f32_f16_e32 v41, v12, v8
	v_dot2c_f32_f16_e32 v39, v12, v9
	v_dot2c_f32_f16_e32 v38, v12, v10
	v_dot2c_f32_f16_e32 v36, v12, v11
	v_dot2c_f32_f16_e32 v32, v13, v8
	v_dot2c_f32_f16_e32 v47, v13, v9
	v_dot2c_f32_f16_e32 v48, v13, v10
	v_dot2c_f32_f16_e32 v49, v13, v11
	v_dot2c_f32_f16_e32 v62, v14, v8
	v_dot2c_f32_f16_e32 v63, v14, v9
	v_dot2c_f32_f16_e32 v64, v14, v10
	v_dot2c_f32_f16_e32 v66, v14, v11
	v_dot2c_f32_f16_e32 v71, v15, v8
	v_dot2c_f32_f16_e32 v74, v15, v9
	v_dot2c_f32_f16_e32 v77, v15, v10
	v_dot2c_f32_f16_e32 v79, v15, v11
	ds_read_b128 v[8:11], v99 offset:22784
	ds_read_b128 v[12:15], v98 offset:6400
	s_waitcnt lgkmcnt(2)
	v_dot2c_f32_f16_e32 v97, v0, v4
	v_dot2c_f32_f16_e32 v96, v0, v5
	;; [unrolled: 1-line block ×16, first 2 shown]
	s_waitcnt lgkmcnt(1)
	v_dot2c_f32_f16_e32 v93, v0, v8
	v_dot2c_f32_f16_e32 v92, v0, v9
	;; [unrolled: 1-line block ×16, first 2 shown]
	ds_read_b128 v[0:3], v98 offset:6656
	s_waitcnt lgkmcnt(1)
	v_dot2c_f32_f16_e32 v37, v12, v4
	v_dot2c_f32_f16_e32 v35, v12, v5
	v_dot2c_f32_f16_e32 v34, v12, v6
	v_dot2c_f32_f16_e32 v33, v12, v7
	v_dot2c_f32_f16_e32 v46, v13, v4
	v_dot2c_f32_f16_e32 v45, v13, v5
	v_dot2c_f32_f16_e32 v44, v13, v6
	v_dot2c_f32_f16_e32 v43, v13, v7
	v_dot2c_f32_f16_e32 v54, v14, v4
	v_dot2c_f32_f16_e32 v56, v14, v5
	v_dot2c_f32_f16_e32 v60, v14, v6
	v_dot2c_f32_f16_e32 v61, v14, v7
	v_dot2c_f32_f16_e32 v76, v15, v4
	v_dot2c_f32_f16_e32 v78, v15, v5
	v_dot2c_f32_f16_e32 v80, v15, v6
	v_dot2c_f32_f16_e32 v81, v15, v7
	ds_read_b128 v[4:7], v99 offset:23040
	v_dot2c_f32_f16_e32 v41, v12, v8
	v_dot2c_f32_f16_e32 v39, v12, v9
	;; [unrolled: 1-line block ×16, first 2 shown]
	ds_read_b128 v[8:11], v99 offset:23296
	ds_read_b128 v[12:15], v98 offset:6912
	s_waitcnt lgkmcnt(2)
	v_dot2c_f32_f16_e32 v97, v0, v4
	v_dot2c_f32_f16_e32 v96, v0, v5
	;; [unrolled: 1-line block ×16, first 2 shown]
	s_waitcnt lgkmcnt(1)
	v_dot2c_f32_f16_e32 v93, v0, v8
	v_dot2c_f32_f16_e32 v92, v0, v9
	;; [unrolled: 1-line block ×16, first 2 shown]
	ds_read_b128 v[0:3], v98 offset:7168
	s_waitcnt lgkmcnt(1)
	v_dot2c_f32_f16_e32 v37, v12, v4
	v_dot2c_f32_f16_e32 v35, v12, v5
	;; [unrolled: 1-line block ×16, first 2 shown]
	ds_read_b128 v[4:7], v99 offset:23552
	v_dot2c_f32_f16_e32 v41, v12, v8
	v_dot2c_f32_f16_e32 v39, v12, v9
	;; [unrolled: 1-line block ×16, first 2 shown]
	ds_read_b128 v[8:11], v99 offset:23808
	ds_read_b128 v[12:15], v98 offset:7424
	s_waitcnt lgkmcnt(2)
	v_dot2c_f32_f16_e32 v97, v0, v4
	v_dot2c_f32_f16_e32 v96, v0, v5
	;; [unrolled: 1-line block ×16, first 2 shown]
	s_waitcnt lgkmcnt(1)
	v_dot2c_f32_f16_e32 v93, v0, v8
	v_dot2c_f32_f16_e32 v92, v0, v9
	;; [unrolled: 1-line block ×16, first 2 shown]
	ds_read_b128 v[0:3], v98 offset:7680
	s_waitcnt lgkmcnt(1)
	v_dot2c_f32_f16_e32 v37, v12, v4
	v_dot2c_f32_f16_e32 v35, v12, v5
	;; [unrolled: 1-line block ×16, first 2 shown]
	ds_read_b128 v[4:7], v99 offset:24064
	v_dot2c_f32_f16_e32 v41, v12, v8
	v_dot2c_f32_f16_e32 v39, v12, v9
	;; [unrolled: 1-line block ×16, first 2 shown]
	ds_read_b128 v[8:11], v99 offset:24320
	ds_read_b128 v[12:15], v98 offset:7936
	s_waitcnt lgkmcnt(2)
	v_dot2c_f32_f16_e32 v97, v0, v4
	v_dot2c_f32_f16_e32 v96, v0, v5
	;; [unrolled: 1-line block ×4, first 2 shown]
	s_waitcnt lgkmcnt(1)
	v_dot2c_f32_f16_e32 v93, v0, v8
	v_dot2c_f32_f16_e32 v92, v0, v9
	;; [unrolled: 1-line block ×4, first 2 shown]
	v_add_u32_e32 v0, s7, v42
	v_mul_lo_u32 v0, v0, s16
	v_dot2c_f32_f16_e32 v75, v2, v4
	v_dot2c_f32_f16_e32 v73, v2, v5
	;; [unrolled: 1-line block ×8, first 2 shown]
	v_add3_u32 v2, s17, v40, v0
	v_dot2c_f32_f16_e32 v85, v1, v4
	v_dot2c_f32_f16_e32 v84, v1, v5
	;; [unrolled: 1-line block ×16, first 2 shown]
	v_cvt_pk_f16_f32 v1, v95, v94
	v_cvt_pk_f16_f32 v0, v97, v96
	s_mov_b32 s7, 0x20000
	v_lshlrev_b32_e32 v3, 1, v2
	buffer_store_dwordx2 v[0:1], v3, s[4:7], 0 offen
	v_add_u32_e32 v3, 64, v2
	s_waitcnt lgkmcnt(0)
	v_dot2c_f32_f16_e32 v37, v12, v4
	v_dot2c_f32_f16_e32 v46, v13, v4
	;; [unrolled: 1-line block ×4, first 2 shown]
	v_cvt_pk_f16_f32 v1, v91, v90
	v_cvt_pk_f16_f32 v0, v93, v92
	v_lshlrev_b32_e32 v4, 1, v3
	buffer_store_dwordx2 v[0:1], v4, s[4:7], 0 offen
	v_cvt_pk_f16_f32 v1, v87, v86
	v_cvt_pk_f16_f32 v0, v89, v88
	v_add_lshl_u32 v3, v3, s16, 1
	v_add_u32_e32 v2, s16, v2
	buffer_store_dwordx2 v[0:1], v3, s[4:7], 0 offen
	v_cvt_pk_f16_f32 v1, v83, v82
	v_cvt_pk_f16_f32 v0, v85, v84
	v_lshlrev_b32_e32 v3, 1, v2
	v_add_u32_e32 v2, s16, v2
	buffer_store_dwordx2 v[0:1], v3, s[4:7], 0 offen
	v_cvt_pk_f16_f32 v1, v72, v70
	v_cvt_pk_f16_f32 v0, v75, v73
	v_lshlrev_b32_e32 v3, 1, v2
	buffer_store_dwordx2 v[0:1], v3, s[4:7], 0 offen
	v_add_u32_e32 v3, 64, v2
	v_cvt_pk_f16_f32 v1, v67, v65
	v_cvt_pk_f16_f32 v0, v69, v68
	v_lshlrev_b32_e32 v4, 1, v3
	buffer_store_dwordx2 v[0:1], v4, s[4:7], 0 offen
	v_cvt_pk_f16_f32 v1, v57, v55
	v_cvt_pk_f16_f32 v0, v59, v58
	v_add_lshl_u32 v3, v3, s16, 1
	v_add_u32_e32 v2, s16, v2
	v_dot2c_f32_f16_e32 v78, v15, v5
	v_dot2c_f32_f16_e32 v80, v15, v6
	;; [unrolled: 1-line block ×3, first 2 shown]
	buffer_store_dwordx2 v[0:1], v3, s[4:7], 0 offen
	v_cvt_pk_f16_f32 v1, v51, v50
	v_cvt_pk_f16_f32 v0, v53, v52
	v_lshlrev_b32_e32 v3, 1, v2
	v_lshl_add_u32 v2, s16, 6, v2
	v_dot2c_f32_f16_e32 v71, v15, v8
	v_dot2c_f32_f16_e32 v74, v15, v9
	;; [unrolled: 1-line block ×4, first 2 shown]
	buffer_store_dwordx2 v[0:1], v3, s[4:7], 0 offen
	v_cvt_pk_f16_f32 v1, v80, v81
	v_cvt_pk_f16_f32 v0, v76, v78
	v_lshlrev_b32_e32 v3, 1, v2
	v_add_u32_e32 v2, 64, v2
	v_dot2c_f32_f16_e32 v62, v14, v8
	v_dot2c_f32_f16_e32 v63, v14, v9
	v_dot2c_f32_f16_e32 v64, v14, v10
	v_dot2c_f32_f16_e32 v66, v14, v11
	buffer_store_dwordx2 v[0:1], v3, s[4:7], 0 offen
	v_cvt_pk_f16_f32 v1, v77, v79
	v_cvt_pk_f16_f32 v0, v71, v74
	v_lshlrev_b32_e32 v3, 1, v2
	v_subrev_u32_e32 v2, s16, v2
	v_dot2c_f32_f16_e32 v56, v14, v5
	v_dot2c_f32_f16_e32 v60, v14, v6
	v_dot2c_f32_f16_e32 v61, v14, v7
	buffer_store_dwordx2 v[0:1], v3, s[4:7], 0 offen
	v_cvt_pk_f16_f32 v1, v64, v66
	v_cvt_pk_f16_f32 v0, v62, v63
	v_lshlrev_b32_e32 v3, 1, v2
	v_subrev_u32_e32 v2, 64, v2
	v_dot2c_f32_f16_e32 v45, v13, v5
	v_dot2c_f32_f16_e32 v44, v13, v6
	v_dot2c_f32_f16_e32 v43, v13, v7
	;; [unrolled: 8-line block ×3, first 2 shown]
	v_dot2c_f32_f16_e32 v49, v13, v11
	buffer_store_dwordx2 v[0:1], v3, s[4:7], 0 offen
	v_cvt_pk_f16_f32 v1, v44, v43
	v_cvt_pk_f16_f32 v0, v46, v45
	v_lshlrev_b32_e32 v3, 1, v2
	v_add_u32_e32 v2, 64, v2
	v_dot2c_f32_f16_e32 v41, v12, v8
	v_dot2c_f32_f16_e32 v39, v12, v9
	;; [unrolled: 1-line block ×4, first 2 shown]
	buffer_store_dwordx2 v[0:1], v3, s[4:7], 0 offen
	v_cvt_pk_f16_f32 v1, v48, v49
	v_cvt_pk_f16_f32 v0, v32, v47
	v_lshlrev_b32_e32 v3, 1, v2
	v_subrev_u32_e32 v2, s16, v2
	v_dot2c_f32_f16_e32 v35, v12, v5
	v_dot2c_f32_f16_e32 v34, v12, v6
	;; [unrolled: 1-line block ×3, first 2 shown]
	buffer_store_dwordx2 v[0:1], v3, s[4:7], 0 offen
	v_cvt_pk_f16_f32 v1, v38, v36
	v_cvt_pk_f16_f32 v0, v41, v39
	v_lshlrev_b32_e32 v2, 1, v2
	buffer_store_dwordx2 v[0:1], v2, s[4:7], 0 offen
	v_cvt_pk_f16_f32 v1, v34, v33
	v_cvt_pk_f16_f32 v0, v37, v35
	v_add_u32_e32 v2, 0xffffff80, v2
	buffer_store_dwordx2 v[0:1], v2, s[4:7], 0 offen
	s_endpgm
	.section	.rodata,"a",@progbits
	.p2align	6, 0x0
	.amdhsa_kernel _ZN2ck19kernel_gemm_dl_v1r3INS_28GridwiseGemmDl_km_kn_mn_v1r3ILi256EDF16_fDF16_LNS_25InMemoryDataOperationEnumE0ENS_16TensorDescriptorINS_5TupleIJNS_5EmbedINS4_IJiiEEENS4_IJNS_17integral_constantIiLi1EEEiEEELb0EEENS_7UnMergeINS4_IJiNS7_IiLi2EEEEEELb0EEENS_11PassThroughIiEEEEENS4_IJNS_8SequenceIJLi0EEEENSI_IJLi2EEEENSI_IJLi1EEEEEEENS4_IJNSI_IJLi1ELi2EEEENSI_IJLi3ELi4EEEENSI_IJLi5EEEEEEENSI_IJLi3ELi5ELi4EEEElEENS3_INS4_IJNS5_IS6_NS4_IJiS8_EEELb0EEESE_SG_EEENS4_IJSJ_SL_SK_EEESQ_SR_lEENS3_INS4_IJSU_SG_SG_EEESW_NS4_IJSN_NSI_IJLi3EEEENSI_IJLi4EEEEEEESO_lEELi128ELi128ELi16ELi2ELi4ELi4ELi1ENSI_IJLi8ELi2EEEES13_NSI_IJLi2ELi1ELi4ELi2EEEENSI_IJLi8ELi1ELi32ELi1EEEENSI_IJLi0ELi3ELi1ELi2EEEES16_NSI_IJLi1ELi1ELi4ELi1EEEES16_NSI_IJLi1ELi1ELi4ELi2EEEES14_S15_S16_S16_S17_S16_S18_NSI_IJLi0ELi1ELi2ELi3ELi4ELi5EEEELi5ELi4EEEDF16_DF16_NS3_INS4_IJSA_SE_SG_SG_NSB_INS4_IJiNS7_IiLi128EEEEEELb0EEENSF_ISC_EEEEENS4_IJSJ_SK_SL_SZ_SP_S10_EEENS4_IJSN_SO_SP_NSI_IJLi6EEEENSI_IJLi7ELi8EEEENSI_IJLi9EEEEEEENSI_IJLi6ELi7ELi8ELi9EEEElEENS3_INS4_IJSU_SE_SG_SG_S1D_S1E_EEENS4_IJSJ_SL_SK_SZ_SP_S10_EEES1K_S1L_lEENS3_INS4_IJSU_SG_SG_NSB_INS4_IJiSC_NS7_IiLi64EEEEEELb0EEES1S_EEENS4_IJSJ_SL_SK_SZ_S10_EEENS4_IJSN_SZ_S10_NSI_IJLi5ELi6ELi7EEEENSI_IJLi8ELi9ELi10EEEEEEENSI_IJLi5ELi6ELi7ELi8ELi9ELi10EEEElEENS_31BlockToCTileMap_M00_N00_M01_N01ILi128ELi128ES12_Lb0EEELb1ELb0EEEvPKT0_S24_PT1_T2_T3_T4_T5_
		.amdhsa_group_segment_fixed_size 32768
		.amdhsa_private_segment_fixed_size 0
		.amdhsa_kernarg_size 328
		.amdhsa_user_sgpr_count 2
		.amdhsa_user_sgpr_dispatch_ptr 0
		.amdhsa_user_sgpr_queue_ptr 0
		.amdhsa_user_sgpr_kernarg_segment_ptr 1
		.amdhsa_user_sgpr_dispatch_id 0
		.amdhsa_user_sgpr_kernarg_preload_length 0
		.amdhsa_user_sgpr_kernarg_preload_offset 0
		.amdhsa_user_sgpr_private_segment_size 0
		.amdhsa_uses_dynamic_stack 0
		.amdhsa_enable_private_segment 0
		.amdhsa_system_sgpr_workgroup_id_x 1
		.amdhsa_system_sgpr_workgroup_id_y 0
		.amdhsa_system_sgpr_workgroup_id_z 0
		.amdhsa_system_sgpr_workgroup_info 0
		.amdhsa_system_vgpr_workitem_id 0
		.amdhsa_next_free_vgpr 103
		.amdhsa_next_free_sgpr 96
		.amdhsa_accum_offset 104
		.amdhsa_reserve_vcc 0
		.amdhsa_float_round_mode_32 0
		.amdhsa_float_round_mode_16_64 0
		.amdhsa_float_denorm_mode_32 3
		.amdhsa_float_denorm_mode_16_64 3
		.amdhsa_dx10_clamp 1
		.amdhsa_ieee_mode 1
		.amdhsa_fp16_overflow 0
		.amdhsa_tg_split 0
		.amdhsa_exception_fp_ieee_invalid_op 0
		.amdhsa_exception_fp_denorm_src 0
		.amdhsa_exception_fp_ieee_div_zero 0
		.amdhsa_exception_fp_ieee_overflow 0
		.amdhsa_exception_fp_ieee_underflow 0
		.amdhsa_exception_fp_ieee_inexact 0
		.amdhsa_exception_int_div_zero 0
	.end_amdhsa_kernel
	.section	.text._ZN2ck19kernel_gemm_dl_v1r3INS_28GridwiseGemmDl_km_kn_mn_v1r3ILi256EDF16_fDF16_LNS_25InMemoryDataOperationEnumE0ENS_16TensorDescriptorINS_5TupleIJNS_5EmbedINS4_IJiiEEENS4_IJNS_17integral_constantIiLi1EEEiEEELb0EEENS_7UnMergeINS4_IJiNS7_IiLi2EEEEEELb0EEENS_11PassThroughIiEEEEENS4_IJNS_8SequenceIJLi0EEEENSI_IJLi2EEEENSI_IJLi1EEEEEEENS4_IJNSI_IJLi1ELi2EEEENSI_IJLi3ELi4EEEENSI_IJLi5EEEEEEENSI_IJLi3ELi5ELi4EEEElEENS3_INS4_IJNS5_IS6_NS4_IJiS8_EEELb0EEESE_SG_EEENS4_IJSJ_SL_SK_EEESQ_SR_lEENS3_INS4_IJSU_SG_SG_EEESW_NS4_IJSN_NSI_IJLi3EEEENSI_IJLi4EEEEEEESO_lEELi128ELi128ELi16ELi2ELi4ELi4ELi1ENSI_IJLi8ELi2EEEES13_NSI_IJLi2ELi1ELi4ELi2EEEENSI_IJLi8ELi1ELi32ELi1EEEENSI_IJLi0ELi3ELi1ELi2EEEES16_NSI_IJLi1ELi1ELi4ELi1EEEES16_NSI_IJLi1ELi1ELi4ELi2EEEES14_S15_S16_S16_S17_S16_S18_NSI_IJLi0ELi1ELi2ELi3ELi4ELi5EEEELi5ELi4EEEDF16_DF16_NS3_INS4_IJSA_SE_SG_SG_NSB_INS4_IJiNS7_IiLi128EEEEEELb0EEENSF_ISC_EEEEENS4_IJSJ_SK_SL_SZ_SP_S10_EEENS4_IJSN_SO_SP_NSI_IJLi6EEEENSI_IJLi7ELi8EEEENSI_IJLi9EEEEEEENSI_IJLi6ELi7ELi8ELi9EEEElEENS3_INS4_IJSU_SE_SG_SG_S1D_S1E_EEENS4_IJSJ_SL_SK_SZ_SP_S10_EEES1K_S1L_lEENS3_INS4_IJSU_SG_SG_NSB_INS4_IJiSC_NS7_IiLi64EEEEEELb0EEES1S_EEENS4_IJSJ_SL_SK_SZ_S10_EEENS4_IJSN_SZ_S10_NSI_IJLi5ELi6ELi7EEEENSI_IJLi8ELi9ELi10EEEEEEENSI_IJLi5ELi6ELi7ELi8ELi9ELi10EEEElEENS_31BlockToCTileMap_M00_N00_M01_N01ILi128ELi128ES12_Lb0EEELb1ELb0EEEvPKT0_S24_PT1_T2_T3_T4_T5_,"axG",@progbits,_ZN2ck19kernel_gemm_dl_v1r3INS_28GridwiseGemmDl_km_kn_mn_v1r3ILi256EDF16_fDF16_LNS_25InMemoryDataOperationEnumE0ENS_16TensorDescriptorINS_5TupleIJNS_5EmbedINS4_IJiiEEENS4_IJNS_17integral_constantIiLi1EEEiEEELb0EEENS_7UnMergeINS4_IJiNS7_IiLi2EEEEEELb0EEENS_11PassThroughIiEEEEENS4_IJNS_8SequenceIJLi0EEEENSI_IJLi2EEEENSI_IJLi1EEEEEEENS4_IJNSI_IJLi1ELi2EEEENSI_IJLi3ELi4EEEENSI_IJLi5EEEEEEENSI_IJLi3ELi5ELi4EEEElEENS3_INS4_IJNS5_IS6_NS4_IJiS8_EEELb0EEESE_SG_EEENS4_IJSJ_SL_SK_EEESQ_SR_lEENS3_INS4_IJSU_SG_SG_EEESW_NS4_IJSN_NSI_IJLi3EEEENSI_IJLi4EEEEEEESO_lEELi128ELi128ELi16ELi2ELi4ELi4ELi1ENSI_IJLi8ELi2EEEES13_NSI_IJLi2ELi1ELi4ELi2EEEENSI_IJLi8ELi1ELi32ELi1EEEENSI_IJLi0ELi3ELi1ELi2EEEES16_NSI_IJLi1ELi1ELi4ELi1EEEES16_NSI_IJLi1ELi1ELi4ELi2EEEES14_S15_S16_S16_S17_S16_S18_NSI_IJLi0ELi1ELi2ELi3ELi4ELi5EEEELi5ELi4EEEDF16_DF16_NS3_INS4_IJSA_SE_SG_SG_NSB_INS4_IJiNS7_IiLi128EEEEEELb0EEENSF_ISC_EEEEENS4_IJSJ_SK_SL_SZ_SP_S10_EEENS4_IJSN_SO_SP_NSI_IJLi6EEEENSI_IJLi7ELi8EEEENSI_IJLi9EEEEEEENSI_IJLi6ELi7ELi8ELi9EEEElEENS3_INS4_IJSU_SE_SG_SG_S1D_S1E_EEENS4_IJSJ_SL_SK_SZ_SP_S10_EEES1K_S1L_lEENS3_INS4_IJSU_SG_SG_NSB_INS4_IJiSC_NS7_IiLi64EEEEEELb0EEES1S_EEENS4_IJSJ_SL_SK_SZ_S10_EEENS4_IJSN_SZ_S10_NSI_IJLi5ELi6ELi7EEEENSI_IJLi8ELi9ELi10EEEEEEENSI_IJLi5ELi6ELi7ELi8ELi9ELi10EEEElEENS_31BlockToCTileMap_M00_N00_M01_N01ILi128ELi128ES12_Lb0EEELb1ELb0EEEvPKT0_S24_PT1_T2_T3_T4_T5_,comdat
.Lfunc_end2:
	.size	_ZN2ck19kernel_gemm_dl_v1r3INS_28GridwiseGemmDl_km_kn_mn_v1r3ILi256EDF16_fDF16_LNS_25InMemoryDataOperationEnumE0ENS_16TensorDescriptorINS_5TupleIJNS_5EmbedINS4_IJiiEEENS4_IJNS_17integral_constantIiLi1EEEiEEELb0EEENS_7UnMergeINS4_IJiNS7_IiLi2EEEEEELb0EEENS_11PassThroughIiEEEEENS4_IJNS_8SequenceIJLi0EEEENSI_IJLi2EEEENSI_IJLi1EEEEEEENS4_IJNSI_IJLi1ELi2EEEENSI_IJLi3ELi4EEEENSI_IJLi5EEEEEEENSI_IJLi3ELi5ELi4EEEElEENS3_INS4_IJNS5_IS6_NS4_IJiS8_EEELb0EEESE_SG_EEENS4_IJSJ_SL_SK_EEESQ_SR_lEENS3_INS4_IJSU_SG_SG_EEESW_NS4_IJSN_NSI_IJLi3EEEENSI_IJLi4EEEEEEESO_lEELi128ELi128ELi16ELi2ELi4ELi4ELi1ENSI_IJLi8ELi2EEEES13_NSI_IJLi2ELi1ELi4ELi2EEEENSI_IJLi8ELi1ELi32ELi1EEEENSI_IJLi0ELi3ELi1ELi2EEEES16_NSI_IJLi1ELi1ELi4ELi1EEEES16_NSI_IJLi1ELi1ELi4ELi2EEEES14_S15_S16_S16_S17_S16_S18_NSI_IJLi0ELi1ELi2ELi3ELi4ELi5EEEELi5ELi4EEEDF16_DF16_NS3_INS4_IJSA_SE_SG_SG_NSB_INS4_IJiNS7_IiLi128EEEEEELb0EEENSF_ISC_EEEEENS4_IJSJ_SK_SL_SZ_SP_S10_EEENS4_IJSN_SO_SP_NSI_IJLi6EEEENSI_IJLi7ELi8EEEENSI_IJLi9EEEEEEENSI_IJLi6ELi7ELi8ELi9EEEElEENS3_INS4_IJSU_SE_SG_SG_S1D_S1E_EEENS4_IJSJ_SL_SK_SZ_SP_S10_EEES1K_S1L_lEENS3_INS4_IJSU_SG_SG_NSB_INS4_IJiSC_NS7_IiLi64EEEEEELb0EEES1S_EEENS4_IJSJ_SL_SK_SZ_S10_EEENS4_IJSN_SZ_S10_NSI_IJLi5ELi6ELi7EEEENSI_IJLi8ELi9ELi10EEEEEEENSI_IJLi5ELi6ELi7ELi8ELi9ELi10EEEElEENS_31BlockToCTileMap_M00_N00_M01_N01ILi128ELi128ES12_Lb0EEELb1ELb0EEEvPKT0_S24_PT1_T2_T3_T4_T5_, .Lfunc_end2-_ZN2ck19kernel_gemm_dl_v1r3INS_28GridwiseGemmDl_km_kn_mn_v1r3ILi256EDF16_fDF16_LNS_25InMemoryDataOperationEnumE0ENS_16TensorDescriptorINS_5TupleIJNS_5EmbedINS4_IJiiEEENS4_IJNS_17integral_constantIiLi1EEEiEEELb0EEENS_7UnMergeINS4_IJiNS7_IiLi2EEEEEELb0EEENS_11PassThroughIiEEEEENS4_IJNS_8SequenceIJLi0EEEENSI_IJLi2EEEENSI_IJLi1EEEEEEENS4_IJNSI_IJLi1ELi2EEEENSI_IJLi3ELi4EEEENSI_IJLi5EEEEEEENSI_IJLi3ELi5ELi4EEEElEENS3_INS4_IJNS5_IS6_NS4_IJiS8_EEELb0EEESE_SG_EEENS4_IJSJ_SL_SK_EEESQ_SR_lEENS3_INS4_IJSU_SG_SG_EEESW_NS4_IJSN_NSI_IJLi3EEEENSI_IJLi4EEEEEEESO_lEELi128ELi128ELi16ELi2ELi4ELi4ELi1ENSI_IJLi8ELi2EEEES13_NSI_IJLi2ELi1ELi4ELi2EEEENSI_IJLi8ELi1ELi32ELi1EEEENSI_IJLi0ELi3ELi1ELi2EEEES16_NSI_IJLi1ELi1ELi4ELi1EEEES16_NSI_IJLi1ELi1ELi4ELi2EEEES14_S15_S16_S16_S17_S16_S18_NSI_IJLi0ELi1ELi2ELi3ELi4ELi5EEEELi5ELi4EEEDF16_DF16_NS3_INS4_IJSA_SE_SG_SG_NSB_INS4_IJiNS7_IiLi128EEEEEELb0EEENSF_ISC_EEEEENS4_IJSJ_SK_SL_SZ_SP_S10_EEENS4_IJSN_SO_SP_NSI_IJLi6EEEENSI_IJLi7ELi8EEEENSI_IJLi9EEEEEEENSI_IJLi6ELi7ELi8ELi9EEEElEENS3_INS4_IJSU_SE_SG_SG_S1D_S1E_EEENS4_IJSJ_SL_SK_SZ_SP_S10_EEES1K_S1L_lEENS3_INS4_IJSU_SG_SG_NSB_INS4_IJiSC_NS7_IiLi64EEEEEELb0EEES1S_EEENS4_IJSJ_SL_SK_SZ_S10_EEENS4_IJSN_SZ_S10_NSI_IJLi5ELi6ELi7EEEENSI_IJLi8ELi9ELi10EEEEEEENSI_IJLi5ELi6ELi7ELi8ELi9ELi10EEEElEENS_31BlockToCTileMap_M00_N00_M01_N01ILi128ELi128ES12_Lb0EEELb1ELb0EEEvPKT0_S24_PT1_T2_T3_T4_T5_
                                        ; -- End function
	.set _ZN2ck19kernel_gemm_dl_v1r3INS_28GridwiseGemmDl_km_kn_mn_v1r3ILi256EDF16_fDF16_LNS_25InMemoryDataOperationEnumE0ENS_16TensorDescriptorINS_5TupleIJNS_5EmbedINS4_IJiiEEENS4_IJNS_17integral_constantIiLi1EEEiEEELb0EEENS_7UnMergeINS4_IJiNS7_IiLi2EEEEEELb0EEENS_11PassThroughIiEEEEENS4_IJNS_8SequenceIJLi0EEEENSI_IJLi2EEEENSI_IJLi1EEEEEEENS4_IJNSI_IJLi1ELi2EEEENSI_IJLi3ELi4EEEENSI_IJLi5EEEEEEENSI_IJLi3ELi5ELi4EEEElEENS3_INS4_IJNS5_IS6_NS4_IJiS8_EEELb0EEESE_SG_EEENS4_IJSJ_SL_SK_EEESQ_SR_lEENS3_INS4_IJSU_SG_SG_EEESW_NS4_IJSN_NSI_IJLi3EEEENSI_IJLi4EEEEEEESO_lEELi128ELi128ELi16ELi2ELi4ELi4ELi1ENSI_IJLi8ELi2EEEES13_NSI_IJLi2ELi1ELi4ELi2EEEENSI_IJLi8ELi1ELi32ELi1EEEENSI_IJLi0ELi3ELi1ELi2EEEES16_NSI_IJLi1ELi1ELi4ELi1EEEES16_NSI_IJLi1ELi1ELi4ELi2EEEES14_S15_S16_S16_S17_S16_S18_NSI_IJLi0ELi1ELi2ELi3ELi4ELi5EEEELi5ELi4EEEDF16_DF16_NS3_INS4_IJSA_SE_SG_SG_NSB_INS4_IJiNS7_IiLi128EEEEEELb0EEENSF_ISC_EEEEENS4_IJSJ_SK_SL_SZ_SP_S10_EEENS4_IJSN_SO_SP_NSI_IJLi6EEEENSI_IJLi7ELi8EEEENSI_IJLi9EEEEEEENSI_IJLi6ELi7ELi8ELi9EEEElEENS3_INS4_IJSU_SE_SG_SG_S1D_S1E_EEENS4_IJSJ_SL_SK_SZ_SP_S10_EEES1K_S1L_lEENS3_INS4_IJSU_SG_SG_NSB_INS4_IJiSC_NS7_IiLi64EEEEEELb0EEES1S_EEENS4_IJSJ_SL_SK_SZ_S10_EEENS4_IJSN_SZ_S10_NSI_IJLi5ELi6ELi7EEEENSI_IJLi8ELi9ELi10EEEEEEENSI_IJLi5ELi6ELi7ELi8ELi9ELi10EEEElEENS_31BlockToCTileMap_M00_N00_M01_N01ILi128ELi128ES12_Lb0EEELb1ELb0EEEvPKT0_S24_PT1_T2_T3_T4_T5_.num_vgpr, 103
	.set _ZN2ck19kernel_gemm_dl_v1r3INS_28GridwiseGemmDl_km_kn_mn_v1r3ILi256EDF16_fDF16_LNS_25InMemoryDataOperationEnumE0ENS_16TensorDescriptorINS_5TupleIJNS_5EmbedINS4_IJiiEEENS4_IJNS_17integral_constantIiLi1EEEiEEELb0EEENS_7UnMergeINS4_IJiNS7_IiLi2EEEEEELb0EEENS_11PassThroughIiEEEEENS4_IJNS_8SequenceIJLi0EEEENSI_IJLi2EEEENSI_IJLi1EEEEEEENS4_IJNSI_IJLi1ELi2EEEENSI_IJLi3ELi4EEEENSI_IJLi5EEEEEEENSI_IJLi3ELi5ELi4EEEElEENS3_INS4_IJNS5_IS6_NS4_IJiS8_EEELb0EEESE_SG_EEENS4_IJSJ_SL_SK_EEESQ_SR_lEENS3_INS4_IJSU_SG_SG_EEESW_NS4_IJSN_NSI_IJLi3EEEENSI_IJLi4EEEEEEESO_lEELi128ELi128ELi16ELi2ELi4ELi4ELi1ENSI_IJLi8ELi2EEEES13_NSI_IJLi2ELi1ELi4ELi2EEEENSI_IJLi8ELi1ELi32ELi1EEEENSI_IJLi0ELi3ELi1ELi2EEEES16_NSI_IJLi1ELi1ELi4ELi1EEEES16_NSI_IJLi1ELi1ELi4ELi2EEEES14_S15_S16_S16_S17_S16_S18_NSI_IJLi0ELi1ELi2ELi3ELi4ELi5EEEELi5ELi4EEEDF16_DF16_NS3_INS4_IJSA_SE_SG_SG_NSB_INS4_IJiNS7_IiLi128EEEEEELb0EEENSF_ISC_EEEEENS4_IJSJ_SK_SL_SZ_SP_S10_EEENS4_IJSN_SO_SP_NSI_IJLi6EEEENSI_IJLi7ELi8EEEENSI_IJLi9EEEEEEENSI_IJLi6ELi7ELi8ELi9EEEElEENS3_INS4_IJSU_SE_SG_SG_S1D_S1E_EEENS4_IJSJ_SL_SK_SZ_SP_S10_EEES1K_S1L_lEENS3_INS4_IJSU_SG_SG_NSB_INS4_IJiSC_NS7_IiLi64EEEEEELb0EEES1S_EEENS4_IJSJ_SL_SK_SZ_S10_EEENS4_IJSN_SZ_S10_NSI_IJLi5ELi6ELi7EEEENSI_IJLi8ELi9ELi10EEEEEEENSI_IJLi5ELi6ELi7ELi8ELi9ELi10EEEElEENS_31BlockToCTileMap_M00_N00_M01_N01ILi128ELi128ES12_Lb0EEELb1ELb0EEEvPKT0_S24_PT1_T2_T3_T4_T5_.num_agpr, 0
	.set _ZN2ck19kernel_gemm_dl_v1r3INS_28GridwiseGemmDl_km_kn_mn_v1r3ILi256EDF16_fDF16_LNS_25InMemoryDataOperationEnumE0ENS_16TensorDescriptorINS_5TupleIJNS_5EmbedINS4_IJiiEEENS4_IJNS_17integral_constantIiLi1EEEiEEELb0EEENS_7UnMergeINS4_IJiNS7_IiLi2EEEEEELb0EEENS_11PassThroughIiEEEEENS4_IJNS_8SequenceIJLi0EEEENSI_IJLi2EEEENSI_IJLi1EEEEEEENS4_IJNSI_IJLi1ELi2EEEENSI_IJLi3ELi4EEEENSI_IJLi5EEEEEEENSI_IJLi3ELi5ELi4EEEElEENS3_INS4_IJNS5_IS6_NS4_IJiS8_EEELb0EEESE_SG_EEENS4_IJSJ_SL_SK_EEESQ_SR_lEENS3_INS4_IJSU_SG_SG_EEESW_NS4_IJSN_NSI_IJLi3EEEENSI_IJLi4EEEEEEESO_lEELi128ELi128ELi16ELi2ELi4ELi4ELi1ENSI_IJLi8ELi2EEEES13_NSI_IJLi2ELi1ELi4ELi2EEEENSI_IJLi8ELi1ELi32ELi1EEEENSI_IJLi0ELi3ELi1ELi2EEEES16_NSI_IJLi1ELi1ELi4ELi1EEEES16_NSI_IJLi1ELi1ELi4ELi2EEEES14_S15_S16_S16_S17_S16_S18_NSI_IJLi0ELi1ELi2ELi3ELi4ELi5EEEELi5ELi4EEEDF16_DF16_NS3_INS4_IJSA_SE_SG_SG_NSB_INS4_IJiNS7_IiLi128EEEEEELb0EEENSF_ISC_EEEEENS4_IJSJ_SK_SL_SZ_SP_S10_EEENS4_IJSN_SO_SP_NSI_IJLi6EEEENSI_IJLi7ELi8EEEENSI_IJLi9EEEEEEENSI_IJLi6ELi7ELi8ELi9EEEElEENS3_INS4_IJSU_SE_SG_SG_S1D_S1E_EEENS4_IJSJ_SL_SK_SZ_SP_S10_EEES1K_S1L_lEENS3_INS4_IJSU_SG_SG_NSB_INS4_IJiSC_NS7_IiLi64EEEEEELb0EEES1S_EEENS4_IJSJ_SL_SK_SZ_S10_EEENS4_IJSN_SZ_S10_NSI_IJLi5ELi6ELi7EEEENSI_IJLi8ELi9ELi10EEEEEEENSI_IJLi5ELi6ELi7ELi8ELi9ELi10EEEElEENS_31BlockToCTileMap_M00_N00_M01_N01ILi128ELi128ES12_Lb0EEELb1ELb0EEEvPKT0_S24_PT1_T2_T3_T4_T5_.numbered_sgpr, 44
	.set _ZN2ck19kernel_gemm_dl_v1r3INS_28GridwiseGemmDl_km_kn_mn_v1r3ILi256EDF16_fDF16_LNS_25InMemoryDataOperationEnumE0ENS_16TensorDescriptorINS_5TupleIJNS_5EmbedINS4_IJiiEEENS4_IJNS_17integral_constantIiLi1EEEiEEELb0EEENS_7UnMergeINS4_IJiNS7_IiLi2EEEEEELb0EEENS_11PassThroughIiEEEEENS4_IJNS_8SequenceIJLi0EEEENSI_IJLi2EEEENSI_IJLi1EEEEEEENS4_IJNSI_IJLi1ELi2EEEENSI_IJLi3ELi4EEEENSI_IJLi5EEEEEEENSI_IJLi3ELi5ELi4EEEElEENS3_INS4_IJNS5_IS6_NS4_IJiS8_EEELb0EEESE_SG_EEENS4_IJSJ_SL_SK_EEESQ_SR_lEENS3_INS4_IJSU_SG_SG_EEESW_NS4_IJSN_NSI_IJLi3EEEENSI_IJLi4EEEEEEESO_lEELi128ELi128ELi16ELi2ELi4ELi4ELi1ENSI_IJLi8ELi2EEEES13_NSI_IJLi2ELi1ELi4ELi2EEEENSI_IJLi8ELi1ELi32ELi1EEEENSI_IJLi0ELi3ELi1ELi2EEEES16_NSI_IJLi1ELi1ELi4ELi1EEEES16_NSI_IJLi1ELi1ELi4ELi2EEEES14_S15_S16_S16_S17_S16_S18_NSI_IJLi0ELi1ELi2ELi3ELi4ELi5EEEELi5ELi4EEEDF16_DF16_NS3_INS4_IJSA_SE_SG_SG_NSB_INS4_IJiNS7_IiLi128EEEEEELb0EEENSF_ISC_EEEEENS4_IJSJ_SK_SL_SZ_SP_S10_EEENS4_IJSN_SO_SP_NSI_IJLi6EEEENSI_IJLi7ELi8EEEENSI_IJLi9EEEEEEENSI_IJLi6ELi7ELi8ELi9EEEElEENS3_INS4_IJSU_SE_SG_SG_S1D_S1E_EEENS4_IJSJ_SL_SK_SZ_SP_S10_EEES1K_S1L_lEENS3_INS4_IJSU_SG_SG_NSB_INS4_IJiSC_NS7_IiLi64EEEEEELb0EEES1S_EEENS4_IJSJ_SL_SK_SZ_S10_EEENS4_IJSN_SZ_S10_NSI_IJLi5ELi6ELi7EEEENSI_IJLi8ELi9ELi10EEEEEEENSI_IJLi5ELi6ELi7ELi8ELi9ELi10EEEElEENS_31BlockToCTileMap_M00_N00_M01_N01ILi128ELi128ES12_Lb0EEELb1ELb0EEEvPKT0_S24_PT1_T2_T3_T4_T5_.num_named_barrier, 0
	.set _ZN2ck19kernel_gemm_dl_v1r3INS_28GridwiseGemmDl_km_kn_mn_v1r3ILi256EDF16_fDF16_LNS_25InMemoryDataOperationEnumE0ENS_16TensorDescriptorINS_5TupleIJNS_5EmbedINS4_IJiiEEENS4_IJNS_17integral_constantIiLi1EEEiEEELb0EEENS_7UnMergeINS4_IJiNS7_IiLi2EEEEEELb0EEENS_11PassThroughIiEEEEENS4_IJNS_8SequenceIJLi0EEEENSI_IJLi2EEEENSI_IJLi1EEEEEEENS4_IJNSI_IJLi1ELi2EEEENSI_IJLi3ELi4EEEENSI_IJLi5EEEEEEENSI_IJLi3ELi5ELi4EEEElEENS3_INS4_IJNS5_IS6_NS4_IJiS8_EEELb0EEESE_SG_EEENS4_IJSJ_SL_SK_EEESQ_SR_lEENS3_INS4_IJSU_SG_SG_EEESW_NS4_IJSN_NSI_IJLi3EEEENSI_IJLi4EEEEEEESO_lEELi128ELi128ELi16ELi2ELi4ELi4ELi1ENSI_IJLi8ELi2EEEES13_NSI_IJLi2ELi1ELi4ELi2EEEENSI_IJLi8ELi1ELi32ELi1EEEENSI_IJLi0ELi3ELi1ELi2EEEES16_NSI_IJLi1ELi1ELi4ELi1EEEES16_NSI_IJLi1ELi1ELi4ELi2EEEES14_S15_S16_S16_S17_S16_S18_NSI_IJLi0ELi1ELi2ELi3ELi4ELi5EEEELi5ELi4EEEDF16_DF16_NS3_INS4_IJSA_SE_SG_SG_NSB_INS4_IJiNS7_IiLi128EEEEEELb0EEENSF_ISC_EEEEENS4_IJSJ_SK_SL_SZ_SP_S10_EEENS4_IJSN_SO_SP_NSI_IJLi6EEEENSI_IJLi7ELi8EEEENSI_IJLi9EEEEEEENSI_IJLi6ELi7ELi8ELi9EEEElEENS3_INS4_IJSU_SE_SG_SG_S1D_S1E_EEENS4_IJSJ_SL_SK_SZ_SP_S10_EEES1K_S1L_lEENS3_INS4_IJSU_SG_SG_NSB_INS4_IJiSC_NS7_IiLi64EEEEEELb0EEES1S_EEENS4_IJSJ_SL_SK_SZ_S10_EEENS4_IJSN_SZ_S10_NSI_IJLi5ELi6ELi7EEEENSI_IJLi8ELi9ELi10EEEEEEENSI_IJLi5ELi6ELi7ELi8ELi9ELi10EEEElEENS_31BlockToCTileMap_M00_N00_M01_N01ILi128ELi128ES12_Lb0EEELb1ELb0EEEvPKT0_S24_PT1_T2_T3_T4_T5_.private_seg_size, 0
	.set _ZN2ck19kernel_gemm_dl_v1r3INS_28GridwiseGemmDl_km_kn_mn_v1r3ILi256EDF16_fDF16_LNS_25InMemoryDataOperationEnumE0ENS_16TensorDescriptorINS_5TupleIJNS_5EmbedINS4_IJiiEEENS4_IJNS_17integral_constantIiLi1EEEiEEELb0EEENS_7UnMergeINS4_IJiNS7_IiLi2EEEEEELb0EEENS_11PassThroughIiEEEEENS4_IJNS_8SequenceIJLi0EEEENSI_IJLi2EEEENSI_IJLi1EEEEEEENS4_IJNSI_IJLi1ELi2EEEENSI_IJLi3ELi4EEEENSI_IJLi5EEEEEEENSI_IJLi3ELi5ELi4EEEElEENS3_INS4_IJNS5_IS6_NS4_IJiS8_EEELb0EEESE_SG_EEENS4_IJSJ_SL_SK_EEESQ_SR_lEENS3_INS4_IJSU_SG_SG_EEESW_NS4_IJSN_NSI_IJLi3EEEENSI_IJLi4EEEEEEESO_lEELi128ELi128ELi16ELi2ELi4ELi4ELi1ENSI_IJLi8ELi2EEEES13_NSI_IJLi2ELi1ELi4ELi2EEEENSI_IJLi8ELi1ELi32ELi1EEEENSI_IJLi0ELi3ELi1ELi2EEEES16_NSI_IJLi1ELi1ELi4ELi1EEEES16_NSI_IJLi1ELi1ELi4ELi2EEEES14_S15_S16_S16_S17_S16_S18_NSI_IJLi0ELi1ELi2ELi3ELi4ELi5EEEELi5ELi4EEEDF16_DF16_NS3_INS4_IJSA_SE_SG_SG_NSB_INS4_IJiNS7_IiLi128EEEEEELb0EEENSF_ISC_EEEEENS4_IJSJ_SK_SL_SZ_SP_S10_EEENS4_IJSN_SO_SP_NSI_IJLi6EEEENSI_IJLi7ELi8EEEENSI_IJLi9EEEEEEENSI_IJLi6ELi7ELi8ELi9EEEElEENS3_INS4_IJSU_SE_SG_SG_S1D_S1E_EEENS4_IJSJ_SL_SK_SZ_SP_S10_EEES1K_S1L_lEENS3_INS4_IJSU_SG_SG_NSB_INS4_IJiSC_NS7_IiLi64EEEEEELb0EEES1S_EEENS4_IJSJ_SL_SK_SZ_S10_EEENS4_IJSN_SZ_S10_NSI_IJLi5ELi6ELi7EEEENSI_IJLi8ELi9ELi10EEEEEEENSI_IJLi5ELi6ELi7ELi8ELi9ELi10EEEElEENS_31BlockToCTileMap_M00_N00_M01_N01ILi128ELi128ES12_Lb0EEELb1ELb0EEEvPKT0_S24_PT1_T2_T3_T4_T5_.uses_vcc, 0
	.set _ZN2ck19kernel_gemm_dl_v1r3INS_28GridwiseGemmDl_km_kn_mn_v1r3ILi256EDF16_fDF16_LNS_25InMemoryDataOperationEnumE0ENS_16TensorDescriptorINS_5TupleIJNS_5EmbedINS4_IJiiEEENS4_IJNS_17integral_constantIiLi1EEEiEEELb0EEENS_7UnMergeINS4_IJiNS7_IiLi2EEEEEELb0EEENS_11PassThroughIiEEEEENS4_IJNS_8SequenceIJLi0EEEENSI_IJLi2EEEENSI_IJLi1EEEEEEENS4_IJNSI_IJLi1ELi2EEEENSI_IJLi3ELi4EEEENSI_IJLi5EEEEEEENSI_IJLi3ELi5ELi4EEEElEENS3_INS4_IJNS5_IS6_NS4_IJiS8_EEELb0EEESE_SG_EEENS4_IJSJ_SL_SK_EEESQ_SR_lEENS3_INS4_IJSU_SG_SG_EEESW_NS4_IJSN_NSI_IJLi3EEEENSI_IJLi4EEEEEEESO_lEELi128ELi128ELi16ELi2ELi4ELi4ELi1ENSI_IJLi8ELi2EEEES13_NSI_IJLi2ELi1ELi4ELi2EEEENSI_IJLi8ELi1ELi32ELi1EEEENSI_IJLi0ELi3ELi1ELi2EEEES16_NSI_IJLi1ELi1ELi4ELi1EEEES16_NSI_IJLi1ELi1ELi4ELi2EEEES14_S15_S16_S16_S17_S16_S18_NSI_IJLi0ELi1ELi2ELi3ELi4ELi5EEEELi5ELi4EEEDF16_DF16_NS3_INS4_IJSA_SE_SG_SG_NSB_INS4_IJiNS7_IiLi128EEEEEELb0EEENSF_ISC_EEEEENS4_IJSJ_SK_SL_SZ_SP_S10_EEENS4_IJSN_SO_SP_NSI_IJLi6EEEENSI_IJLi7ELi8EEEENSI_IJLi9EEEEEEENSI_IJLi6ELi7ELi8ELi9EEEElEENS3_INS4_IJSU_SE_SG_SG_S1D_S1E_EEENS4_IJSJ_SL_SK_SZ_SP_S10_EEES1K_S1L_lEENS3_INS4_IJSU_SG_SG_NSB_INS4_IJiSC_NS7_IiLi64EEEEEELb0EEES1S_EEENS4_IJSJ_SL_SK_SZ_S10_EEENS4_IJSN_SZ_S10_NSI_IJLi5ELi6ELi7EEEENSI_IJLi8ELi9ELi10EEEEEEENSI_IJLi5ELi6ELi7ELi8ELi9ELi10EEEElEENS_31BlockToCTileMap_M00_N00_M01_N01ILi128ELi128ES12_Lb0EEELb1ELb0EEEvPKT0_S24_PT1_T2_T3_T4_T5_.uses_flat_scratch, 0
	.set _ZN2ck19kernel_gemm_dl_v1r3INS_28GridwiseGemmDl_km_kn_mn_v1r3ILi256EDF16_fDF16_LNS_25InMemoryDataOperationEnumE0ENS_16TensorDescriptorINS_5TupleIJNS_5EmbedINS4_IJiiEEENS4_IJNS_17integral_constantIiLi1EEEiEEELb0EEENS_7UnMergeINS4_IJiNS7_IiLi2EEEEEELb0EEENS_11PassThroughIiEEEEENS4_IJNS_8SequenceIJLi0EEEENSI_IJLi2EEEENSI_IJLi1EEEEEEENS4_IJNSI_IJLi1ELi2EEEENSI_IJLi3ELi4EEEENSI_IJLi5EEEEEEENSI_IJLi3ELi5ELi4EEEElEENS3_INS4_IJNS5_IS6_NS4_IJiS8_EEELb0EEESE_SG_EEENS4_IJSJ_SL_SK_EEESQ_SR_lEENS3_INS4_IJSU_SG_SG_EEESW_NS4_IJSN_NSI_IJLi3EEEENSI_IJLi4EEEEEEESO_lEELi128ELi128ELi16ELi2ELi4ELi4ELi1ENSI_IJLi8ELi2EEEES13_NSI_IJLi2ELi1ELi4ELi2EEEENSI_IJLi8ELi1ELi32ELi1EEEENSI_IJLi0ELi3ELi1ELi2EEEES16_NSI_IJLi1ELi1ELi4ELi1EEEES16_NSI_IJLi1ELi1ELi4ELi2EEEES14_S15_S16_S16_S17_S16_S18_NSI_IJLi0ELi1ELi2ELi3ELi4ELi5EEEELi5ELi4EEEDF16_DF16_NS3_INS4_IJSA_SE_SG_SG_NSB_INS4_IJiNS7_IiLi128EEEEEELb0EEENSF_ISC_EEEEENS4_IJSJ_SK_SL_SZ_SP_S10_EEENS4_IJSN_SO_SP_NSI_IJLi6EEEENSI_IJLi7ELi8EEEENSI_IJLi9EEEEEEENSI_IJLi6ELi7ELi8ELi9EEEElEENS3_INS4_IJSU_SE_SG_SG_S1D_S1E_EEENS4_IJSJ_SL_SK_SZ_SP_S10_EEES1K_S1L_lEENS3_INS4_IJSU_SG_SG_NSB_INS4_IJiSC_NS7_IiLi64EEEEEELb0EEES1S_EEENS4_IJSJ_SL_SK_SZ_S10_EEENS4_IJSN_SZ_S10_NSI_IJLi5ELi6ELi7EEEENSI_IJLi8ELi9ELi10EEEEEEENSI_IJLi5ELi6ELi7ELi8ELi9ELi10EEEElEENS_31BlockToCTileMap_M00_N00_M01_N01ILi128ELi128ES12_Lb0EEELb1ELb0EEEvPKT0_S24_PT1_T2_T3_T4_T5_.has_dyn_sized_stack, 0
	.set _ZN2ck19kernel_gemm_dl_v1r3INS_28GridwiseGemmDl_km_kn_mn_v1r3ILi256EDF16_fDF16_LNS_25InMemoryDataOperationEnumE0ENS_16TensorDescriptorINS_5TupleIJNS_5EmbedINS4_IJiiEEENS4_IJNS_17integral_constantIiLi1EEEiEEELb0EEENS_7UnMergeINS4_IJiNS7_IiLi2EEEEEELb0EEENS_11PassThroughIiEEEEENS4_IJNS_8SequenceIJLi0EEEENSI_IJLi2EEEENSI_IJLi1EEEEEEENS4_IJNSI_IJLi1ELi2EEEENSI_IJLi3ELi4EEEENSI_IJLi5EEEEEEENSI_IJLi3ELi5ELi4EEEElEENS3_INS4_IJNS5_IS6_NS4_IJiS8_EEELb0EEESE_SG_EEENS4_IJSJ_SL_SK_EEESQ_SR_lEENS3_INS4_IJSU_SG_SG_EEESW_NS4_IJSN_NSI_IJLi3EEEENSI_IJLi4EEEEEEESO_lEELi128ELi128ELi16ELi2ELi4ELi4ELi1ENSI_IJLi8ELi2EEEES13_NSI_IJLi2ELi1ELi4ELi2EEEENSI_IJLi8ELi1ELi32ELi1EEEENSI_IJLi0ELi3ELi1ELi2EEEES16_NSI_IJLi1ELi1ELi4ELi1EEEES16_NSI_IJLi1ELi1ELi4ELi2EEEES14_S15_S16_S16_S17_S16_S18_NSI_IJLi0ELi1ELi2ELi3ELi4ELi5EEEELi5ELi4EEEDF16_DF16_NS3_INS4_IJSA_SE_SG_SG_NSB_INS4_IJiNS7_IiLi128EEEEEELb0EEENSF_ISC_EEEEENS4_IJSJ_SK_SL_SZ_SP_S10_EEENS4_IJSN_SO_SP_NSI_IJLi6EEEENSI_IJLi7ELi8EEEENSI_IJLi9EEEEEEENSI_IJLi6ELi7ELi8ELi9EEEElEENS3_INS4_IJSU_SE_SG_SG_S1D_S1E_EEENS4_IJSJ_SL_SK_SZ_SP_S10_EEES1K_S1L_lEENS3_INS4_IJSU_SG_SG_NSB_INS4_IJiSC_NS7_IiLi64EEEEEELb0EEES1S_EEENS4_IJSJ_SL_SK_SZ_S10_EEENS4_IJSN_SZ_S10_NSI_IJLi5ELi6ELi7EEEENSI_IJLi8ELi9ELi10EEEEEEENSI_IJLi5ELi6ELi7ELi8ELi9ELi10EEEElEENS_31BlockToCTileMap_M00_N00_M01_N01ILi128ELi128ES12_Lb0EEELb1ELb0EEEvPKT0_S24_PT1_T2_T3_T4_T5_.has_recursion, 0
	.set _ZN2ck19kernel_gemm_dl_v1r3INS_28GridwiseGemmDl_km_kn_mn_v1r3ILi256EDF16_fDF16_LNS_25InMemoryDataOperationEnumE0ENS_16TensorDescriptorINS_5TupleIJNS_5EmbedINS4_IJiiEEENS4_IJNS_17integral_constantIiLi1EEEiEEELb0EEENS_7UnMergeINS4_IJiNS7_IiLi2EEEEEELb0EEENS_11PassThroughIiEEEEENS4_IJNS_8SequenceIJLi0EEEENSI_IJLi2EEEENSI_IJLi1EEEEEEENS4_IJNSI_IJLi1ELi2EEEENSI_IJLi3ELi4EEEENSI_IJLi5EEEEEEENSI_IJLi3ELi5ELi4EEEElEENS3_INS4_IJNS5_IS6_NS4_IJiS8_EEELb0EEESE_SG_EEENS4_IJSJ_SL_SK_EEESQ_SR_lEENS3_INS4_IJSU_SG_SG_EEESW_NS4_IJSN_NSI_IJLi3EEEENSI_IJLi4EEEEEEESO_lEELi128ELi128ELi16ELi2ELi4ELi4ELi1ENSI_IJLi8ELi2EEEES13_NSI_IJLi2ELi1ELi4ELi2EEEENSI_IJLi8ELi1ELi32ELi1EEEENSI_IJLi0ELi3ELi1ELi2EEEES16_NSI_IJLi1ELi1ELi4ELi1EEEES16_NSI_IJLi1ELi1ELi4ELi2EEEES14_S15_S16_S16_S17_S16_S18_NSI_IJLi0ELi1ELi2ELi3ELi4ELi5EEEELi5ELi4EEEDF16_DF16_NS3_INS4_IJSA_SE_SG_SG_NSB_INS4_IJiNS7_IiLi128EEEEEELb0EEENSF_ISC_EEEEENS4_IJSJ_SK_SL_SZ_SP_S10_EEENS4_IJSN_SO_SP_NSI_IJLi6EEEENSI_IJLi7ELi8EEEENSI_IJLi9EEEEEEENSI_IJLi6ELi7ELi8ELi9EEEElEENS3_INS4_IJSU_SE_SG_SG_S1D_S1E_EEENS4_IJSJ_SL_SK_SZ_SP_S10_EEES1K_S1L_lEENS3_INS4_IJSU_SG_SG_NSB_INS4_IJiSC_NS7_IiLi64EEEEEELb0EEES1S_EEENS4_IJSJ_SL_SK_SZ_S10_EEENS4_IJSN_SZ_S10_NSI_IJLi5ELi6ELi7EEEENSI_IJLi8ELi9ELi10EEEEEEENSI_IJLi5ELi6ELi7ELi8ELi9ELi10EEEElEENS_31BlockToCTileMap_M00_N00_M01_N01ILi128ELi128ES12_Lb0EEELb1ELb0EEEvPKT0_S24_PT1_T2_T3_T4_T5_.has_indirect_call, 0
	.section	.AMDGPU.csdata,"",@progbits
; Kernel info:
; codeLenInByte = 16792
; TotalNumSgprs: 50
; NumVgprs: 103
; NumAgprs: 0
; TotalNumVgprs: 103
; ScratchSize: 0
; MemoryBound: 0
; FloatMode: 240
; IeeeMode: 1
; LDSByteSize: 32768 bytes/workgroup (compile time only)
; SGPRBlocks: 12
; VGPRBlocks: 12
; NumSGPRsForWavesPerEU: 102
; NumVGPRsForWavesPerEU: 103
; AccumOffset: 104
; Occupancy: 4
; WaveLimiterHint : 0
; COMPUTE_PGM_RSRC2:SCRATCH_EN: 0
; COMPUTE_PGM_RSRC2:USER_SGPR: 2
; COMPUTE_PGM_RSRC2:TRAP_HANDLER: 0
; COMPUTE_PGM_RSRC2:TGID_X_EN: 1
; COMPUTE_PGM_RSRC2:TGID_Y_EN: 0
; COMPUTE_PGM_RSRC2:TGID_Z_EN: 0
; COMPUTE_PGM_RSRC2:TIDIG_COMP_CNT: 0
; COMPUTE_PGM_RSRC3_GFX90A:ACCUM_OFFSET: 25
; COMPUTE_PGM_RSRC3_GFX90A:TG_SPLIT: 0
	.section	.text._ZN2ck19kernel_gemm_dl_v1r3INS_28GridwiseGemmDl_km_kn_mn_v1r3ILi256EDF16_fDF16_LNS_25InMemoryDataOperationEnumE0ENS_16TensorDescriptorINS_5TupleIJNS_5EmbedINS4_IJiiEEENS4_IJNS_17integral_constantIiLi1EEEiEEELb0EEENS_7UnMergeINS4_IJiNS7_IiLi2EEEEEELb0EEENS_11PassThroughIiEEEEENS4_IJNS_8SequenceIJLi0EEEENSI_IJLi2EEEENSI_IJLi1EEEEEEENS4_IJNSI_IJLi1ELi2EEEENSI_IJLi3ELi4EEEENSI_IJLi5EEEEEEENSI_IJLi3ELi5ELi4EEEElEENS3_INS4_IJNS5_IS6_NS4_IJiS8_EEELb0EEESE_SG_EEENS4_IJSJ_SL_SK_EEESQ_SR_lEENS3_INS4_IJSU_SG_SG_EEESW_NS4_IJSN_NSI_IJLi3EEEENSI_IJLi4EEEEEEESO_lEELi128ELi128ELi16ELi2ELi4ELi4ELi1ENSI_IJLi8ELi2EEEES13_NSI_IJLi2ELi1ELi4ELi2EEEENSI_IJLi8ELi1ELi32ELi1EEEENSI_IJLi0ELi3ELi1ELi2EEEES16_NSI_IJLi1ELi1ELi4ELi1EEEES16_NSI_IJLi1ELi1ELi4ELi2EEEES14_S15_S16_S16_S17_S16_S18_NSI_IJLi0ELi1ELi2ELi3ELi4ELi5EEEELi5ELi4EEEDF16_DF16_NS3_INS4_IJSA_SE_SG_SG_NSB_INS4_IJiNS7_IiLi128EEEEEELb0EEENSF_ISC_EEEEENS4_IJSJ_SK_SL_SZ_SP_S10_EEENS4_IJSN_SO_SP_NSI_IJLi6EEEENSI_IJLi7ELi8EEEENSI_IJLi9EEEEEEENSI_IJLi6ELi7ELi8ELi9EEEElEENS3_INS4_IJSU_SE_SG_SG_S1D_S1E_EEENS4_IJSJ_SL_SK_SZ_SP_S10_EEES1K_S1L_lEENS3_INS4_IJSU_SG_SG_NSB_INS4_IJiSC_NS7_IiLi64EEEEEELb0EEES1S_EEENS4_IJSJ_SL_SK_SZ_S10_EEENS4_IJSN_SZ_S10_NSI_IJLi5ELi6ELi7EEEENSI_IJLi8ELi9ELi10EEEEEEENSI_IJLi5ELi6ELi7ELi8ELi9ELi10EEEElEENS_31BlockToCTileMap_M00_N00_M01_N01ILi128ELi128ES12_Lb0EEELb0ELb1EEEvPKT0_S24_PT1_T2_T3_T4_T5_,"axG",@progbits,_ZN2ck19kernel_gemm_dl_v1r3INS_28GridwiseGemmDl_km_kn_mn_v1r3ILi256EDF16_fDF16_LNS_25InMemoryDataOperationEnumE0ENS_16TensorDescriptorINS_5TupleIJNS_5EmbedINS4_IJiiEEENS4_IJNS_17integral_constantIiLi1EEEiEEELb0EEENS_7UnMergeINS4_IJiNS7_IiLi2EEEEEELb0EEENS_11PassThroughIiEEEEENS4_IJNS_8SequenceIJLi0EEEENSI_IJLi2EEEENSI_IJLi1EEEEEEENS4_IJNSI_IJLi1ELi2EEEENSI_IJLi3ELi4EEEENSI_IJLi5EEEEEEENSI_IJLi3ELi5ELi4EEEElEENS3_INS4_IJNS5_IS6_NS4_IJiS8_EEELb0EEESE_SG_EEENS4_IJSJ_SL_SK_EEESQ_SR_lEENS3_INS4_IJSU_SG_SG_EEESW_NS4_IJSN_NSI_IJLi3EEEENSI_IJLi4EEEEEEESO_lEELi128ELi128ELi16ELi2ELi4ELi4ELi1ENSI_IJLi8ELi2EEEES13_NSI_IJLi2ELi1ELi4ELi2EEEENSI_IJLi8ELi1ELi32ELi1EEEENSI_IJLi0ELi3ELi1ELi2EEEES16_NSI_IJLi1ELi1ELi4ELi1EEEES16_NSI_IJLi1ELi1ELi4ELi2EEEES14_S15_S16_S16_S17_S16_S18_NSI_IJLi0ELi1ELi2ELi3ELi4ELi5EEEELi5ELi4EEEDF16_DF16_NS3_INS4_IJSA_SE_SG_SG_NSB_INS4_IJiNS7_IiLi128EEEEEELb0EEENSF_ISC_EEEEENS4_IJSJ_SK_SL_SZ_SP_S10_EEENS4_IJSN_SO_SP_NSI_IJLi6EEEENSI_IJLi7ELi8EEEENSI_IJLi9EEEEEEENSI_IJLi6ELi7ELi8ELi9EEEElEENS3_INS4_IJSU_SE_SG_SG_S1D_S1E_EEENS4_IJSJ_SL_SK_SZ_SP_S10_EEES1K_S1L_lEENS3_INS4_IJSU_SG_SG_NSB_INS4_IJiSC_NS7_IiLi64EEEEEELb0EEES1S_EEENS4_IJSJ_SL_SK_SZ_S10_EEENS4_IJSN_SZ_S10_NSI_IJLi5ELi6ELi7EEEENSI_IJLi8ELi9ELi10EEEEEEENSI_IJLi5ELi6ELi7ELi8ELi9ELi10EEEElEENS_31BlockToCTileMap_M00_N00_M01_N01ILi128ELi128ES12_Lb0EEELb0ELb1EEEvPKT0_S24_PT1_T2_T3_T4_T5_,comdat
	.protected	_ZN2ck19kernel_gemm_dl_v1r3INS_28GridwiseGemmDl_km_kn_mn_v1r3ILi256EDF16_fDF16_LNS_25InMemoryDataOperationEnumE0ENS_16TensorDescriptorINS_5TupleIJNS_5EmbedINS4_IJiiEEENS4_IJNS_17integral_constantIiLi1EEEiEEELb0EEENS_7UnMergeINS4_IJiNS7_IiLi2EEEEEELb0EEENS_11PassThroughIiEEEEENS4_IJNS_8SequenceIJLi0EEEENSI_IJLi2EEEENSI_IJLi1EEEEEEENS4_IJNSI_IJLi1ELi2EEEENSI_IJLi3ELi4EEEENSI_IJLi5EEEEEEENSI_IJLi3ELi5ELi4EEEElEENS3_INS4_IJNS5_IS6_NS4_IJiS8_EEELb0EEESE_SG_EEENS4_IJSJ_SL_SK_EEESQ_SR_lEENS3_INS4_IJSU_SG_SG_EEESW_NS4_IJSN_NSI_IJLi3EEEENSI_IJLi4EEEEEEESO_lEELi128ELi128ELi16ELi2ELi4ELi4ELi1ENSI_IJLi8ELi2EEEES13_NSI_IJLi2ELi1ELi4ELi2EEEENSI_IJLi8ELi1ELi32ELi1EEEENSI_IJLi0ELi3ELi1ELi2EEEES16_NSI_IJLi1ELi1ELi4ELi1EEEES16_NSI_IJLi1ELi1ELi4ELi2EEEES14_S15_S16_S16_S17_S16_S18_NSI_IJLi0ELi1ELi2ELi3ELi4ELi5EEEELi5ELi4EEEDF16_DF16_NS3_INS4_IJSA_SE_SG_SG_NSB_INS4_IJiNS7_IiLi128EEEEEELb0EEENSF_ISC_EEEEENS4_IJSJ_SK_SL_SZ_SP_S10_EEENS4_IJSN_SO_SP_NSI_IJLi6EEEENSI_IJLi7ELi8EEEENSI_IJLi9EEEEEEENSI_IJLi6ELi7ELi8ELi9EEEElEENS3_INS4_IJSU_SE_SG_SG_S1D_S1E_EEENS4_IJSJ_SL_SK_SZ_SP_S10_EEES1K_S1L_lEENS3_INS4_IJSU_SG_SG_NSB_INS4_IJiSC_NS7_IiLi64EEEEEELb0EEES1S_EEENS4_IJSJ_SL_SK_SZ_S10_EEENS4_IJSN_SZ_S10_NSI_IJLi5ELi6ELi7EEEENSI_IJLi8ELi9ELi10EEEEEEENSI_IJLi5ELi6ELi7ELi8ELi9ELi10EEEElEENS_31BlockToCTileMap_M00_N00_M01_N01ILi128ELi128ES12_Lb0EEELb0ELb1EEEvPKT0_S24_PT1_T2_T3_T4_T5_ ; -- Begin function _ZN2ck19kernel_gemm_dl_v1r3INS_28GridwiseGemmDl_km_kn_mn_v1r3ILi256EDF16_fDF16_LNS_25InMemoryDataOperationEnumE0ENS_16TensorDescriptorINS_5TupleIJNS_5EmbedINS4_IJiiEEENS4_IJNS_17integral_constantIiLi1EEEiEEELb0EEENS_7UnMergeINS4_IJiNS7_IiLi2EEEEEELb0EEENS_11PassThroughIiEEEEENS4_IJNS_8SequenceIJLi0EEEENSI_IJLi2EEEENSI_IJLi1EEEEEEENS4_IJNSI_IJLi1ELi2EEEENSI_IJLi3ELi4EEEENSI_IJLi5EEEEEEENSI_IJLi3ELi5ELi4EEEElEENS3_INS4_IJNS5_IS6_NS4_IJiS8_EEELb0EEESE_SG_EEENS4_IJSJ_SL_SK_EEESQ_SR_lEENS3_INS4_IJSU_SG_SG_EEESW_NS4_IJSN_NSI_IJLi3EEEENSI_IJLi4EEEEEEESO_lEELi128ELi128ELi16ELi2ELi4ELi4ELi1ENSI_IJLi8ELi2EEEES13_NSI_IJLi2ELi1ELi4ELi2EEEENSI_IJLi8ELi1ELi32ELi1EEEENSI_IJLi0ELi3ELi1ELi2EEEES16_NSI_IJLi1ELi1ELi4ELi1EEEES16_NSI_IJLi1ELi1ELi4ELi2EEEES14_S15_S16_S16_S17_S16_S18_NSI_IJLi0ELi1ELi2ELi3ELi4ELi5EEEELi5ELi4EEEDF16_DF16_NS3_INS4_IJSA_SE_SG_SG_NSB_INS4_IJiNS7_IiLi128EEEEEELb0EEENSF_ISC_EEEEENS4_IJSJ_SK_SL_SZ_SP_S10_EEENS4_IJSN_SO_SP_NSI_IJLi6EEEENSI_IJLi7ELi8EEEENSI_IJLi9EEEEEEENSI_IJLi6ELi7ELi8ELi9EEEElEENS3_INS4_IJSU_SE_SG_SG_S1D_S1E_EEENS4_IJSJ_SL_SK_SZ_SP_S10_EEES1K_S1L_lEENS3_INS4_IJSU_SG_SG_NSB_INS4_IJiSC_NS7_IiLi64EEEEEELb0EEES1S_EEENS4_IJSJ_SL_SK_SZ_S10_EEENS4_IJSN_SZ_S10_NSI_IJLi5ELi6ELi7EEEENSI_IJLi8ELi9ELi10EEEEEEENSI_IJLi5ELi6ELi7ELi8ELi9ELi10EEEElEENS_31BlockToCTileMap_M00_N00_M01_N01ILi128ELi128ES12_Lb0EEELb0ELb1EEEvPKT0_S24_PT1_T2_T3_T4_T5_
	.globl	_ZN2ck19kernel_gemm_dl_v1r3INS_28GridwiseGemmDl_km_kn_mn_v1r3ILi256EDF16_fDF16_LNS_25InMemoryDataOperationEnumE0ENS_16TensorDescriptorINS_5TupleIJNS_5EmbedINS4_IJiiEEENS4_IJNS_17integral_constantIiLi1EEEiEEELb0EEENS_7UnMergeINS4_IJiNS7_IiLi2EEEEEELb0EEENS_11PassThroughIiEEEEENS4_IJNS_8SequenceIJLi0EEEENSI_IJLi2EEEENSI_IJLi1EEEEEEENS4_IJNSI_IJLi1ELi2EEEENSI_IJLi3ELi4EEEENSI_IJLi5EEEEEEENSI_IJLi3ELi5ELi4EEEElEENS3_INS4_IJNS5_IS6_NS4_IJiS8_EEELb0EEESE_SG_EEENS4_IJSJ_SL_SK_EEESQ_SR_lEENS3_INS4_IJSU_SG_SG_EEESW_NS4_IJSN_NSI_IJLi3EEEENSI_IJLi4EEEEEEESO_lEELi128ELi128ELi16ELi2ELi4ELi4ELi1ENSI_IJLi8ELi2EEEES13_NSI_IJLi2ELi1ELi4ELi2EEEENSI_IJLi8ELi1ELi32ELi1EEEENSI_IJLi0ELi3ELi1ELi2EEEES16_NSI_IJLi1ELi1ELi4ELi1EEEES16_NSI_IJLi1ELi1ELi4ELi2EEEES14_S15_S16_S16_S17_S16_S18_NSI_IJLi0ELi1ELi2ELi3ELi4ELi5EEEELi5ELi4EEEDF16_DF16_NS3_INS4_IJSA_SE_SG_SG_NSB_INS4_IJiNS7_IiLi128EEEEEELb0EEENSF_ISC_EEEEENS4_IJSJ_SK_SL_SZ_SP_S10_EEENS4_IJSN_SO_SP_NSI_IJLi6EEEENSI_IJLi7ELi8EEEENSI_IJLi9EEEEEEENSI_IJLi6ELi7ELi8ELi9EEEElEENS3_INS4_IJSU_SE_SG_SG_S1D_S1E_EEENS4_IJSJ_SL_SK_SZ_SP_S10_EEES1K_S1L_lEENS3_INS4_IJSU_SG_SG_NSB_INS4_IJiSC_NS7_IiLi64EEEEEELb0EEES1S_EEENS4_IJSJ_SL_SK_SZ_S10_EEENS4_IJSN_SZ_S10_NSI_IJLi5ELi6ELi7EEEENSI_IJLi8ELi9ELi10EEEEEEENSI_IJLi5ELi6ELi7ELi8ELi9ELi10EEEElEENS_31BlockToCTileMap_M00_N00_M01_N01ILi128ELi128ES12_Lb0EEELb0ELb1EEEvPKT0_S24_PT1_T2_T3_T4_T5_
	.p2align	8
	.type	_ZN2ck19kernel_gemm_dl_v1r3INS_28GridwiseGemmDl_km_kn_mn_v1r3ILi256EDF16_fDF16_LNS_25InMemoryDataOperationEnumE0ENS_16TensorDescriptorINS_5TupleIJNS_5EmbedINS4_IJiiEEENS4_IJNS_17integral_constantIiLi1EEEiEEELb0EEENS_7UnMergeINS4_IJiNS7_IiLi2EEEEEELb0EEENS_11PassThroughIiEEEEENS4_IJNS_8SequenceIJLi0EEEENSI_IJLi2EEEENSI_IJLi1EEEEEEENS4_IJNSI_IJLi1ELi2EEEENSI_IJLi3ELi4EEEENSI_IJLi5EEEEEEENSI_IJLi3ELi5ELi4EEEElEENS3_INS4_IJNS5_IS6_NS4_IJiS8_EEELb0EEESE_SG_EEENS4_IJSJ_SL_SK_EEESQ_SR_lEENS3_INS4_IJSU_SG_SG_EEESW_NS4_IJSN_NSI_IJLi3EEEENSI_IJLi4EEEEEEESO_lEELi128ELi128ELi16ELi2ELi4ELi4ELi1ENSI_IJLi8ELi2EEEES13_NSI_IJLi2ELi1ELi4ELi2EEEENSI_IJLi8ELi1ELi32ELi1EEEENSI_IJLi0ELi3ELi1ELi2EEEES16_NSI_IJLi1ELi1ELi4ELi1EEEES16_NSI_IJLi1ELi1ELi4ELi2EEEES14_S15_S16_S16_S17_S16_S18_NSI_IJLi0ELi1ELi2ELi3ELi4ELi5EEEELi5ELi4EEEDF16_DF16_NS3_INS4_IJSA_SE_SG_SG_NSB_INS4_IJiNS7_IiLi128EEEEEELb0EEENSF_ISC_EEEEENS4_IJSJ_SK_SL_SZ_SP_S10_EEENS4_IJSN_SO_SP_NSI_IJLi6EEEENSI_IJLi7ELi8EEEENSI_IJLi9EEEEEEENSI_IJLi6ELi7ELi8ELi9EEEElEENS3_INS4_IJSU_SE_SG_SG_S1D_S1E_EEENS4_IJSJ_SL_SK_SZ_SP_S10_EEES1K_S1L_lEENS3_INS4_IJSU_SG_SG_NSB_INS4_IJiSC_NS7_IiLi64EEEEEELb0EEES1S_EEENS4_IJSJ_SL_SK_SZ_S10_EEENS4_IJSN_SZ_S10_NSI_IJLi5ELi6ELi7EEEENSI_IJLi8ELi9ELi10EEEEEEENSI_IJLi5ELi6ELi7ELi8ELi9ELi10EEEElEENS_31BlockToCTileMap_M00_N00_M01_N01ILi128ELi128ES12_Lb0EEELb0ELb1EEEvPKT0_S24_PT1_T2_T3_T4_T5_,@function
_ZN2ck19kernel_gemm_dl_v1r3INS_28GridwiseGemmDl_km_kn_mn_v1r3ILi256EDF16_fDF16_LNS_25InMemoryDataOperationEnumE0ENS_16TensorDescriptorINS_5TupleIJNS_5EmbedINS4_IJiiEEENS4_IJNS_17integral_constantIiLi1EEEiEEELb0EEENS_7UnMergeINS4_IJiNS7_IiLi2EEEEEELb0EEENS_11PassThroughIiEEEEENS4_IJNS_8SequenceIJLi0EEEENSI_IJLi2EEEENSI_IJLi1EEEEEEENS4_IJNSI_IJLi1ELi2EEEENSI_IJLi3ELi4EEEENSI_IJLi5EEEEEEENSI_IJLi3ELi5ELi4EEEElEENS3_INS4_IJNS5_IS6_NS4_IJiS8_EEELb0EEESE_SG_EEENS4_IJSJ_SL_SK_EEESQ_SR_lEENS3_INS4_IJSU_SG_SG_EEESW_NS4_IJSN_NSI_IJLi3EEEENSI_IJLi4EEEEEEESO_lEELi128ELi128ELi16ELi2ELi4ELi4ELi1ENSI_IJLi8ELi2EEEES13_NSI_IJLi2ELi1ELi4ELi2EEEENSI_IJLi8ELi1ELi32ELi1EEEENSI_IJLi0ELi3ELi1ELi2EEEES16_NSI_IJLi1ELi1ELi4ELi1EEEES16_NSI_IJLi1ELi1ELi4ELi2EEEES14_S15_S16_S16_S17_S16_S18_NSI_IJLi0ELi1ELi2ELi3ELi4ELi5EEEELi5ELi4EEEDF16_DF16_NS3_INS4_IJSA_SE_SG_SG_NSB_INS4_IJiNS7_IiLi128EEEEEELb0EEENSF_ISC_EEEEENS4_IJSJ_SK_SL_SZ_SP_S10_EEENS4_IJSN_SO_SP_NSI_IJLi6EEEENSI_IJLi7ELi8EEEENSI_IJLi9EEEEEEENSI_IJLi6ELi7ELi8ELi9EEEElEENS3_INS4_IJSU_SE_SG_SG_S1D_S1E_EEENS4_IJSJ_SL_SK_SZ_SP_S10_EEES1K_S1L_lEENS3_INS4_IJSU_SG_SG_NSB_INS4_IJiSC_NS7_IiLi64EEEEEELb0EEES1S_EEENS4_IJSJ_SL_SK_SZ_S10_EEENS4_IJSN_SZ_S10_NSI_IJLi5ELi6ELi7EEEENSI_IJLi8ELi9ELi10EEEEEEENSI_IJLi5ELi6ELi7ELi8ELi9ELi10EEEElEENS_31BlockToCTileMap_M00_N00_M01_N01ILi128ELi128ES12_Lb0EEELb0ELb1EEEvPKT0_S24_PT1_T2_T3_T4_T5_: ; @_ZN2ck19kernel_gemm_dl_v1r3INS_28GridwiseGemmDl_km_kn_mn_v1r3ILi256EDF16_fDF16_LNS_25InMemoryDataOperationEnumE0ENS_16TensorDescriptorINS_5TupleIJNS_5EmbedINS4_IJiiEEENS4_IJNS_17integral_constantIiLi1EEEiEEELb0EEENS_7UnMergeINS4_IJiNS7_IiLi2EEEEEELb0EEENS_11PassThroughIiEEEEENS4_IJNS_8SequenceIJLi0EEEENSI_IJLi2EEEENSI_IJLi1EEEEEEENS4_IJNSI_IJLi1ELi2EEEENSI_IJLi3ELi4EEEENSI_IJLi5EEEEEEENSI_IJLi3ELi5ELi4EEEElEENS3_INS4_IJNS5_IS6_NS4_IJiS8_EEELb0EEESE_SG_EEENS4_IJSJ_SL_SK_EEESQ_SR_lEENS3_INS4_IJSU_SG_SG_EEESW_NS4_IJSN_NSI_IJLi3EEEENSI_IJLi4EEEEEEESO_lEELi128ELi128ELi16ELi2ELi4ELi4ELi1ENSI_IJLi8ELi2EEEES13_NSI_IJLi2ELi1ELi4ELi2EEEENSI_IJLi8ELi1ELi32ELi1EEEENSI_IJLi0ELi3ELi1ELi2EEEES16_NSI_IJLi1ELi1ELi4ELi1EEEES16_NSI_IJLi1ELi1ELi4ELi2EEEES14_S15_S16_S16_S17_S16_S18_NSI_IJLi0ELi1ELi2ELi3ELi4ELi5EEEELi5ELi4EEEDF16_DF16_NS3_INS4_IJSA_SE_SG_SG_NSB_INS4_IJiNS7_IiLi128EEEEEELb0EEENSF_ISC_EEEEENS4_IJSJ_SK_SL_SZ_SP_S10_EEENS4_IJSN_SO_SP_NSI_IJLi6EEEENSI_IJLi7ELi8EEEENSI_IJLi9EEEEEEENSI_IJLi6ELi7ELi8ELi9EEEElEENS3_INS4_IJSU_SE_SG_SG_S1D_S1E_EEENS4_IJSJ_SL_SK_SZ_SP_S10_EEES1K_S1L_lEENS3_INS4_IJSU_SG_SG_NSB_INS4_IJiSC_NS7_IiLi64EEEEEELb0EEES1S_EEENS4_IJSJ_SL_SK_SZ_S10_EEENS4_IJSN_SZ_S10_NSI_IJLi5ELi6ELi7EEEENSI_IJLi8ELi9ELi10EEEEEEENSI_IJLi5ELi6ELi7ELi8ELi9ELi10EEEElEENS_31BlockToCTileMap_M00_N00_M01_N01ILi128ELi128ES12_Lb0EEELb0ELb1EEEvPKT0_S24_PT1_T2_T3_T4_T5_
; %bb.0:
	s_load_dwordx8 s[12:19], s[0:1], 0x10c
	s_load_dwordx4 s[8:11], s[0:1], 0x0
	s_load_dwordx4 s[4:7], s[0:1], 0x130
	s_load_dword s3, s[0:1], 0xfc
	s_load_dwordx4 s[20:23], s[0:1], 0x108
	s_waitcnt lgkmcnt(0)
	s_mul_hi_u32 s13, s19, s2
	s_add_i32 s13, s2, s13
	s_lshr_b32 s7, s13, s7
	s_mul_hi_u32 s13, s7, s18
	s_add_i32 s13, s7, s13
	s_lshr_b32 s6, s13, s6
	s_mul_hi_u32 s13, s6, s17
	s_add_i32 s13, s6, s13
	s_lshr_b32 s5, s13, s5
	s_mul_i32 s13, s7, s14
	s_sub_i32 s2, s2, s13
	s_mul_hi_u32 s13, s5, s16
	s_mul_i32 s12, s5, s12
	s_add_i32 s13, s5, s13
	s_sub_i32 s12, s6, s12
	s_lshr_b32 s4, s13, s4
	s_mul_i32 s4, s4, s20
	s_mul_i32 s13, s6, s22
	;; [unrolled: 1-line block ×3, first 2 shown]
	v_lshrrev_b32_e32 v1, 4, v0
	s_sub_i32 s6, s5, s4
	s_sub_i32 s7, s7, s13
	s_add_i32 s5, s2, s12
	s_load_dword s13, s[0:1], 0xec
	s_load_dword s3, s[0:1], 0x24
	;; [unrolled: 1-line block ×7, first 2 shown]
	v_and_b32_e32 v1, 14, v1
	v_lshlrev_b32_e32 v2, 2, v0
	v_lshlrev_b32_e32 v4, 1, v1
	s_waitcnt lgkmcnt(0)
	s_mul_i32 s6, s6, s13
	v_and_b32_e32 v3, 0x7c, v2
	v_mul_lo_u32 v5, s3, v4
	s_lshl_b32 s19, s5, 7
	v_mul_lo_u32 v4, s2, v4
	s_add_i32 s7, s7, s6
	v_add3_u32 v4, v4, v3, s19
	s_lshl_b32 s18, s7, 7
	s_lshl_b32 s14, s12, 1
	s_mov_b32 s12, s10
	v_add_u32_e32 v13, s2, v4
	s_lshl_b32 s10, s2, 1
	v_add3_u32 v5, v5, v3, s18
	s_mov_b32 s7, 0x20000
	s_and_b32 s13, s11, 0xffff
	v_add_u32_e32 v69, s10, v13
	s_lshl_b32 s11, s3, 1
	v_add_u32_e32 v7, s3, v5
	s_mov_b32 s15, s7
	v_lshlrev_b32_e32 v12, 1, v4
	v_lshlrev_b32_e32 v14, 1, v13
	;; [unrolled: 1-line block ×3, first 2 shown]
	v_add_u32_e32 v70, s10, v4
	v_add_u32_e32 v72, s11, v5
	s_lshl_b32 s6, s4, 1
	s_and_b32 s5, s9, 0xffff
	s_mov_b32 s4, s8
	v_lshlrev_b32_e32 v6, 1, v5
	v_lshlrev_b32_e32 v20, 1, v7
	buffer_load_dwordx2 v[8:9], v12, s[12:15], 0 offen
	buffer_load_dwordx2 v[10:11], v14, s[12:15], 0 offen
	v_lshlrev_b32_e32 v4, 1, v70
	buffer_load_dwordx2 v[12:13], v21, s[12:15], 0 offen
	buffer_load_dwordx2 v[14:15], v4, s[12:15], 0 offen
	;; [unrolled: 1-line block ×4, first 2 shown]
	v_add_u32_e32 v71, s11, v7
	v_lshlrev_b32_e32 v5, 1, v72
	v_lshlrev_b32_e32 v4, 1, v71
	buffer_load_dwordx2 v[20:21], v5, s[4:7], 0 offen
	buffer_load_dwordx2 v[22:23], v4, s[4:7], 0 offen
	v_lshrrev_b32_e32 v4, 5, v0
	v_lshlrev_b32_e32 v0, 1, v0
	v_lshlrev_b32_e32 v5, 6, v4
	v_and_b32_e32 v6, 0x1f8, v0
	v_lshlrev_b32_e32 v4, 3, v4
	s_mov_b32 s9, 0x7060302
	s_mov_b32 s8, 0x5040100
	v_sub_u32_e32 v5, v6, v5
	v_and_or_b32 v6, v0, 4, v4
	v_lshlrev_b32_e32 v0, 2, v3
	v_and_or_b32 v5, v2, 4, v5
	v_lshl_or_b32 v68, v1, 9, v0
	v_lshlrev_b32_e32 v66, 2, v6
	v_lshlrev_b32_e32 v67, 2, v5
	v_mov_b32_e32 v25, 0
	v_mov_b32_e32 v28, 0
	;; [unrolled: 1-line block ×36, first 2 shown]
	s_mul_i32 s20, s3, 30
	v_add_u32_e32 v71, s20, v71
	v_lshlrev_b32_e32 v73, 1, v71
	v_add_u32_e32 v71, s11, v71
	v_add_lshl_u32 v72, v72, s20, 1
	s_load_dwordx2 s[0:1], s[0:1], 0x10
	v_or_b32_e32 v6, s18, v6
	v_mul_lo_u32 v6, v6, s16
	v_add3_u32 v5, s19, v5, v6
	v_lshlrev_b32_e32 v6, 1, v5
	s_waitcnt lgkmcnt(0)
	s_and_b32 s1, s1, 0xffff
	s_waitcnt vmcnt(6)
	v_perm_b32 v3, v11, v9, s9
	v_perm_b32 v1, v10, v8, s9
	v_perm_b32 v0, v10, v8, s8
	v_perm_b32 v2, v11, v9, s8
	s_waitcnt vmcnt(4)
	v_perm_b32 v11, v13, v15, s9
	v_perm_b32 v9, v12, v14, s9
	v_perm_b32 v8, v12, v14, s8
	v_perm_b32 v10, v13, v15, s8
	;; [unrolled: 5-line block ×4, first 2 shown]
	ds_write_b128 v68, v[12:15]
	ds_write_b128 v68, v[16:19] offset:512
	ds_write_b128 v68, v[0:3] offset:16384
	;; [unrolled: 1-line block ×3, first 2 shown]
	s_waitcnt lgkmcnt(0)
	s_barrier
	ds_read_b128 v[54:57], v66
	ds_read_b128 v[58:61], v67 offset:16384
	ds_read_b128 v[74:77], v67 offset:16640
	;; [unrolled: 1-line block ×3, first 2 shown]
	v_mov_b32_e32 v11, 0
	v_mov_b32_e32 v13, 0
	;; [unrolled: 1-line block ×3, first 2 shown]
	s_waitcnt lgkmcnt(2)
	v_dot2c_f32_f16_e32 v25, v54, v58
	v_dot2c_f32_f16_e32 v28, v54, v59
	;; [unrolled: 1-line block ×4, first 2 shown]
	v_mov_b32_e32 v19, 0
	s_waitcnt lgkmcnt(1)
	v_dot2c_f32_f16_e32 v47, v54, v74
	v_dot2c_f32_f16_e32 v48, v54, v75
	v_dot2c_f32_f16_e32 v51, v54, v76
	v_dot2c_f32_f16_e32 v52, v54, v77
	v_mov_b32_e32 v54, 0
	v_dot2c_f32_f16_e32 v11, v55, v58
	v_dot2c_f32_f16_e32 v13, v55, v59
	;; [unrolled: 1-line block ×4, first 2 shown]
	v_mov_b32_e32 v12, 0
	v_mov_b32_e32 v14, 0
	;; [unrolled: 1-line block ×7, first 2 shown]
	v_dot2c_f32_f16_e32 v49, v55, v74
	v_dot2c_f32_f16_e32 v50, v55, v75
	;; [unrolled: 1-line block ×4, first 2 shown]
	v_mov_b32_e32 v1, 0
	v_mov_b32_e32 v15, 0
	;; [unrolled: 1-line block ×3, first 2 shown]
	v_dot2c_f32_f16_e32 v12, v56, v58
	v_dot2c_f32_f16_e32 v14, v56, v59
	;; [unrolled: 1-line block ×16, first 2 shown]
	s_waitcnt lgkmcnt(0)
	v_dot2c_f32_f16_e32 v1, v78, v58
	v_mov_b32_e32 v2, 0
	v_mov_b32_e32 v3, 0
	v_dot2c_f32_f16_e32 v15, v79, v58
	v_mov_b32_e32 v17, 0
	v_mov_b32_e32 v21, 0
	;; [unrolled: 1-line block ×3, first 2 shown]
	v_dot2c_f32_f16_e32 v26, v80, v58
	v_dot2c_f32_f16_e32 v55, v81, v58
	v_mov_b32_e32 v56, 0
	v_mov_b32_e32 v57, 0
	;; [unrolled: 1-line block ×4, first 2 shown]
	v_dot2c_f32_f16_e32 v2, v78, v59
	v_dot2c_f32_f16_e32 v3, v78, v60
	;; [unrolled: 1-line block ×12, first 2 shown]
	v_mov_b32_e32 v23, 0
	v_mov_b32_e32 v59, 0
	;; [unrolled: 1-line block ×4, first 2 shown]
	ds_read_b128 v[82:85], v66 offset:512
	ds_read_b128 v[86:89], v67 offset:16896
	v_dot2c_f32_f16_e32 v23, v78, v74
	v_dot2c_f32_f16_e32 v24, v78, v75
	;; [unrolled: 1-line block ×16, first 2 shown]
	ds_read_b128 v[74:77], v67 offset:17152
	ds_read_b128 v[78:81], v66 offset:768
	s_waitcnt lgkmcnt(2)
	v_dot2c_f32_f16_e32 v25, v82, v86
	v_dot2c_f32_f16_e32 v28, v82, v87
	v_dot2c_f32_f16_e32 v31, v82, v88
	v_dot2c_f32_f16_e32 v33, v82, v89
	v_dot2c_f32_f16_e32 v11, v83, v86
	v_dot2c_f32_f16_e32 v13, v83, v87
	v_dot2c_f32_f16_e32 v16, v83, v88
	v_dot2c_f32_f16_e32 v19, v83, v89
	v_dot2c_f32_f16_e32 v12, v84, v86
	v_dot2c_f32_f16_e32 v14, v84, v87
	v_dot2c_f32_f16_e32 v18, v84, v88
	v_dot2c_f32_f16_e32 v20, v84, v89
	v_dot2c_f32_f16_e32 v7, v85, v86
	v_dot2c_f32_f16_e32 v8, v85, v87
	v_dot2c_f32_f16_e32 v9, v85, v88
	v_dot2c_f32_f16_e32 v10, v85, v89
	s_waitcnt lgkmcnt(1)
	v_dot2c_f32_f16_e32 v47, v82, v74
	v_dot2c_f32_f16_e32 v48, v82, v75
	v_dot2c_f32_f16_e32 v51, v82, v76
	v_dot2c_f32_f16_e32 v52, v82, v77
	v_dot2c_f32_f16_e32 v49, v83, v74
	v_dot2c_f32_f16_e32 v50, v83, v75
	v_dot2c_f32_f16_e32 v53, v83, v76
	v_dot2c_f32_f16_e32 v54, v83, v77
	v_dot2c_f32_f16_e32 v35, v84, v74
	v_dot2c_f32_f16_e32 v36, v84, v75
	v_dot2c_f32_f16_e32 v41, v84, v76
	v_dot2c_f32_f16_e32 v42, v84, v77
	v_dot2c_f32_f16_e32 v37, v85, v74
	v_dot2c_f32_f16_e32 v39, v85, v75
	v_dot2c_f32_f16_e32 v43, v85, v76
	v_dot2c_f32_f16_e32 v45, v85, v77
	;; [unrolled: 17-line block ×3, first 2 shown]
	ds_read_b128 v[82:85], v66 offset:1024
	ds_read_b128 v[86:89], v67 offset:17408
	v_dot2c_f32_f16_e32 v23, v78, v74
	v_dot2c_f32_f16_e32 v24, v78, v75
	;; [unrolled: 1-line block ×16, first 2 shown]
	ds_read_b128 v[74:77], v67 offset:17664
	ds_read_b128 v[78:81], v66 offset:1280
	s_waitcnt lgkmcnt(2)
	v_dot2c_f32_f16_e32 v25, v82, v86
	v_dot2c_f32_f16_e32 v28, v82, v87
	v_dot2c_f32_f16_e32 v31, v82, v88
	v_dot2c_f32_f16_e32 v33, v82, v89
	v_dot2c_f32_f16_e32 v11, v83, v86
	v_dot2c_f32_f16_e32 v13, v83, v87
	v_dot2c_f32_f16_e32 v16, v83, v88
	v_dot2c_f32_f16_e32 v19, v83, v89
	v_dot2c_f32_f16_e32 v12, v84, v86
	v_dot2c_f32_f16_e32 v14, v84, v87
	v_dot2c_f32_f16_e32 v18, v84, v88
	v_dot2c_f32_f16_e32 v20, v84, v89
	v_dot2c_f32_f16_e32 v7, v85, v86
	v_dot2c_f32_f16_e32 v8, v85, v87
	v_dot2c_f32_f16_e32 v9, v85, v88
	v_dot2c_f32_f16_e32 v10, v85, v89
	s_waitcnt lgkmcnt(1)
	v_dot2c_f32_f16_e32 v47, v82, v74
	v_dot2c_f32_f16_e32 v48, v82, v75
	v_dot2c_f32_f16_e32 v51, v82, v76
	v_dot2c_f32_f16_e32 v52, v82, v77
	v_dot2c_f32_f16_e32 v49, v83, v74
	v_dot2c_f32_f16_e32 v50, v83, v75
	v_dot2c_f32_f16_e32 v53, v83, v76
	v_dot2c_f32_f16_e32 v54, v83, v77
	v_dot2c_f32_f16_e32 v35, v84, v74
	v_dot2c_f32_f16_e32 v36, v84, v75
	v_dot2c_f32_f16_e32 v41, v84, v76
	v_dot2c_f32_f16_e32 v42, v84, v77
	v_dot2c_f32_f16_e32 v37, v85, v74
	v_dot2c_f32_f16_e32 v39, v85, v75
	v_dot2c_f32_f16_e32 v43, v85, v76
	v_dot2c_f32_f16_e32 v45, v85, v77
	;; [unrolled: 17-line block ×3, first 2 shown]
	ds_read_b128 v[82:85], v66 offset:1536
	ds_read_b128 v[86:89], v67 offset:17920
	v_dot2c_f32_f16_e32 v23, v78, v74
	v_dot2c_f32_f16_e32 v24, v78, v75
	v_dot2c_f32_f16_e32 v27, v78, v76
	v_dot2c_f32_f16_e32 v30, v78, v77
	v_dot2c_f32_f16_e32 v38, v79, v74
	v_dot2c_f32_f16_e32 v40, v79, v75
	v_dot2c_f32_f16_e32 v44, v79, v76
	v_dot2c_f32_f16_e32 v46, v79, v77
	v_dot2c_f32_f16_e32 v59, v80, v74
	v_dot2c_f32_f16_e32 v60, v80, v75
	v_dot2c_f32_f16_e32 v61, v80, v76
	v_dot2c_f32_f16_e32 v62, v80, v77
	v_dot2c_f32_f16_e32 v63, v81, v74
	v_dot2c_f32_f16_e32 v64, v81, v75
	v_dot2c_f32_f16_e32 v65, v81, v76
	v_dot2c_f32_f16_e32 v0, v81, v77
	ds_read_b128 v[74:77], v67 offset:18176
	ds_read_b128 v[78:81], v66 offset:1792
	s_waitcnt lgkmcnt(2)
	v_dot2c_f32_f16_e32 v25, v82, v86
	v_dot2c_f32_f16_e32 v28, v82, v87
	v_dot2c_f32_f16_e32 v31, v82, v88
	v_dot2c_f32_f16_e32 v33, v82, v89
	v_dot2c_f32_f16_e32 v11, v83, v86
	v_dot2c_f32_f16_e32 v13, v83, v87
	v_dot2c_f32_f16_e32 v16, v83, v88
	v_dot2c_f32_f16_e32 v19, v83, v89
	v_dot2c_f32_f16_e32 v12, v84, v86
	v_dot2c_f32_f16_e32 v14, v84, v87
	v_dot2c_f32_f16_e32 v18, v84, v88
	v_dot2c_f32_f16_e32 v20, v84, v89
	v_dot2c_f32_f16_e32 v7, v85, v86
	v_dot2c_f32_f16_e32 v8, v85, v87
	v_dot2c_f32_f16_e32 v9, v85, v88
	v_dot2c_f32_f16_e32 v10, v85, v89
	s_waitcnt lgkmcnt(1)
	v_dot2c_f32_f16_e32 v47, v82, v74
	v_dot2c_f32_f16_e32 v48, v82, v75
	v_dot2c_f32_f16_e32 v51, v82, v76
	v_dot2c_f32_f16_e32 v52, v82, v77
	v_dot2c_f32_f16_e32 v49, v83, v74
	v_dot2c_f32_f16_e32 v50, v83, v75
	v_dot2c_f32_f16_e32 v53, v83, v76
	v_dot2c_f32_f16_e32 v54, v83, v77
	v_dot2c_f32_f16_e32 v35, v84, v74
	v_dot2c_f32_f16_e32 v36, v84, v75
	v_dot2c_f32_f16_e32 v41, v84, v76
	v_dot2c_f32_f16_e32 v42, v84, v77
	v_dot2c_f32_f16_e32 v37, v85, v74
	v_dot2c_f32_f16_e32 v39, v85, v75
	v_dot2c_f32_f16_e32 v43, v85, v76
	v_dot2c_f32_f16_e32 v45, v85, v77
	;; [unrolled: 17-line block ×3, first 2 shown]
	ds_read_b128 v[82:85], v66 offset:2048
	ds_read_b128 v[86:89], v67 offset:18432
	v_dot2c_f32_f16_e32 v23, v78, v74
	v_dot2c_f32_f16_e32 v24, v78, v75
	;; [unrolled: 1-line block ×16, first 2 shown]
	ds_read_b128 v[74:77], v67 offset:18688
	ds_read_b128 v[78:81], v66 offset:2304
	s_waitcnt lgkmcnt(2)
	v_dot2c_f32_f16_e32 v25, v82, v86
	v_dot2c_f32_f16_e32 v28, v82, v87
	v_dot2c_f32_f16_e32 v31, v82, v88
	v_dot2c_f32_f16_e32 v33, v82, v89
	v_dot2c_f32_f16_e32 v11, v83, v86
	v_dot2c_f32_f16_e32 v13, v83, v87
	v_dot2c_f32_f16_e32 v16, v83, v88
	v_dot2c_f32_f16_e32 v19, v83, v89
	v_dot2c_f32_f16_e32 v12, v84, v86
	v_dot2c_f32_f16_e32 v14, v84, v87
	v_dot2c_f32_f16_e32 v18, v84, v88
	v_dot2c_f32_f16_e32 v20, v84, v89
	v_dot2c_f32_f16_e32 v7, v85, v86
	v_dot2c_f32_f16_e32 v8, v85, v87
	v_dot2c_f32_f16_e32 v9, v85, v88
	v_dot2c_f32_f16_e32 v10, v85, v89
	s_waitcnt lgkmcnt(1)
	v_dot2c_f32_f16_e32 v47, v82, v74
	v_dot2c_f32_f16_e32 v48, v82, v75
	v_dot2c_f32_f16_e32 v51, v82, v76
	v_dot2c_f32_f16_e32 v52, v82, v77
	v_dot2c_f32_f16_e32 v49, v83, v74
	v_dot2c_f32_f16_e32 v50, v83, v75
	v_dot2c_f32_f16_e32 v53, v83, v76
	v_dot2c_f32_f16_e32 v54, v83, v77
	v_dot2c_f32_f16_e32 v35, v84, v74
	v_dot2c_f32_f16_e32 v36, v84, v75
	v_dot2c_f32_f16_e32 v41, v84, v76
	v_dot2c_f32_f16_e32 v42, v84, v77
	v_dot2c_f32_f16_e32 v37, v85, v74
	v_dot2c_f32_f16_e32 v39, v85, v75
	v_dot2c_f32_f16_e32 v43, v85, v76
	v_dot2c_f32_f16_e32 v45, v85, v77
	;; [unrolled: 17-line block ×3, first 2 shown]
	ds_read_b128 v[82:85], v66 offset:2560
	ds_read_b128 v[86:89], v67 offset:18944
	v_dot2c_f32_f16_e32 v23, v78, v74
	v_dot2c_f32_f16_e32 v24, v78, v75
	;; [unrolled: 1-line block ×16, first 2 shown]
	ds_read_b128 v[74:77], v67 offset:19200
	ds_read_b128 v[78:81], v66 offset:2816
	s_waitcnt lgkmcnt(2)
	v_dot2c_f32_f16_e32 v25, v82, v86
	v_dot2c_f32_f16_e32 v28, v82, v87
	v_dot2c_f32_f16_e32 v31, v82, v88
	v_dot2c_f32_f16_e32 v33, v82, v89
	v_dot2c_f32_f16_e32 v11, v83, v86
	v_dot2c_f32_f16_e32 v13, v83, v87
	v_dot2c_f32_f16_e32 v16, v83, v88
	v_dot2c_f32_f16_e32 v19, v83, v89
	v_dot2c_f32_f16_e32 v12, v84, v86
	v_dot2c_f32_f16_e32 v14, v84, v87
	v_dot2c_f32_f16_e32 v18, v84, v88
	v_dot2c_f32_f16_e32 v20, v84, v89
	v_dot2c_f32_f16_e32 v7, v85, v86
	v_dot2c_f32_f16_e32 v8, v85, v87
	v_dot2c_f32_f16_e32 v9, v85, v88
	v_dot2c_f32_f16_e32 v10, v85, v89
	s_waitcnt lgkmcnt(1)
	v_dot2c_f32_f16_e32 v47, v82, v74
	v_dot2c_f32_f16_e32 v48, v82, v75
	v_dot2c_f32_f16_e32 v51, v82, v76
	v_dot2c_f32_f16_e32 v52, v82, v77
	v_dot2c_f32_f16_e32 v49, v83, v74
	v_dot2c_f32_f16_e32 v50, v83, v75
	v_dot2c_f32_f16_e32 v53, v83, v76
	v_dot2c_f32_f16_e32 v54, v83, v77
	v_dot2c_f32_f16_e32 v35, v84, v74
	v_dot2c_f32_f16_e32 v36, v84, v75
	v_dot2c_f32_f16_e32 v41, v84, v76
	v_dot2c_f32_f16_e32 v42, v84, v77
	v_dot2c_f32_f16_e32 v37, v85, v74
	v_dot2c_f32_f16_e32 v39, v85, v75
	v_dot2c_f32_f16_e32 v43, v85, v76
	v_dot2c_f32_f16_e32 v45, v85, v77
	;; [unrolled: 17-line block ×3, first 2 shown]
	ds_read_b128 v[82:85], v66 offset:3072
	ds_read_b128 v[86:89], v67 offset:19456
	v_dot2c_f32_f16_e32 v23, v78, v74
	v_dot2c_f32_f16_e32 v24, v78, v75
	;; [unrolled: 1-line block ×16, first 2 shown]
	ds_read_b128 v[74:77], v67 offset:19712
	ds_read_b128 v[78:81], v66 offset:3328
	s_waitcnt lgkmcnt(2)
	v_dot2c_f32_f16_e32 v25, v82, v86
	v_dot2c_f32_f16_e32 v28, v82, v87
	v_dot2c_f32_f16_e32 v31, v82, v88
	v_dot2c_f32_f16_e32 v33, v82, v89
	v_dot2c_f32_f16_e32 v11, v83, v86
	v_dot2c_f32_f16_e32 v13, v83, v87
	v_dot2c_f32_f16_e32 v16, v83, v88
	v_dot2c_f32_f16_e32 v19, v83, v89
	v_dot2c_f32_f16_e32 v12, v84, v86
	v_dot2c_f32_f16_e32 v14, v84, v87
	v_dot2c_f32_f16_e32 v18, v84, v88
	v_dot2c_f32_f16_e32 v20, v84, v89
	v_dot2c_f32_f16_e32 v7, v85, v86
	v_dot2c_f32_f16_e32 v8, v85, v87
	v_dot2c_f32_f16_e32 v9, v85, v88
	v_dot2c_f32_f16_e32 v10, v85, v89
	s_waitcnt lgkmcnt(1)
	v_dot2c_f32_f16_e32 v47, v82, v74
	v_dot2c_f32_f16_e32 v48, v82, v75
	v_dot2c_f32_f16_e32 v51, v82, v76
	v_dot2c_f32_f16_e32 v52, v82, v77
	v_dot2c_f32_f16_e32 v49, v83, v74
	v_dot2c_f32_f16_e32 v50, v83, v75
	v_dot2c_f32_f16_e32 v53, v83, v76
	v_dot2c_f32_f16_e32 v54, v83, v77
	v_dot2c_f32_f16_e32 v35, v84, v74
	v_dot2c_f32_f16_e32 v36, v84, v75
	v_dot2c_f32_f16_e32 v41, v84, v76
	v_dot2c_f32_f16_e32 v42, v84, v77
	v_dot2c_f32_f16_e32 v37, v85, v74
	v_dot2c_f32_f16_e32 v39, v85, v75
	v_dot2c_f32_f16_e32 v43, v85, v76
	v_dot2c_f32_f16_e32 v45, v85, v77
	;; [unrolled: 17-line block ×3, first 2 shown]
	ds_read_b128 v[82:85], v66 offset:3584
	ds_read_b128 v[86:89], v67 offset:19968
	v_dot2c_f32_f16_e32 v23, v78, v74
	v_dot2c_f32_f16_e32 v24, v78, v75
	;; [unrolled: 1-line block ×16, first 2 shown]
	ds_read_b128 v[74:77], v67 offset:20224
	ds_read_b128 v[78:81], v66 offset:3840
	s_waitcnt lgkmcnt(2)
	v_dot2c_f32_f16_e32 v25, v82, v86
	v_dot2c_f32_f16_e32 v28, v82, v87
	v_dot2c_f32_f16_e32 v31, v82, v88
	v_dot2c_f32_f16_e32 v33, v82, v89
	v_dot2c_f32_f16_e32 v11, v83, v86
	v_dot2c_f32_f16_e32 v13, v83, v87
	v_dot2c_f32_f16_e32 v16, v83, v88
	v_dot2c_f32_f16_e32 v19, v83, v89
	v_dot2c_f32_f16_e32 v12, v84, v86
	v_dot2c_f32_f16_e32 v14, v84, v87
	v_dot2c_f32_f16_e32 v18, v84, v88
	v_dot2c_f32_f16_e32 v20, v84, v89
	v_dot2c_f32_f16_e32 v7, v85, v86
	v_dot2c_f32_f16_e32 v8, v85, v87
	v_dot2c_f32_f16_e32 v9, v85, v88
	v_dot2c_f32_f16_e32 v10, v85, v89
	s_waitcnt lgkmcnt(1)
	v_dot2c_f32_f16_e32 v47, v82, v74
	v_dot2c_f32_f16_e32 v48, v82, v75
	v_dot2c_f32_f16_e32 v51, v82, v76
	v_dot2c_f32_f16_e32 v52, v82, v77
	v_dot2c_f32_f16_e32 v49, v83, v74
	v_dot2c_f32_f16_e32 v50, v83, v75
	v_dot2c_f32_f16_e32 v53, v83, v76
	v_dot2c_f32_f16_e32 v54, v83, v77
	v_dot2c_f32_f16_e32 v35, v84, v74
	v_dot2c_f32_f16_e32 v36, v84, v75
	v_dot2c_f32_f16_e32 v41, v84, v76
	v_dot2c_f32_f16_e32 v42, v84, v77
	v_dot2c_f32_f16_e32 v37, v85, v74
	v_dot2c_f32_f16_e32 v39, v85, v75
	v_dot2c_f32_f16_e32 v43, v85, v76
	v_dot2c_f32_f16_e32 v45, v85, v77
	s_waitcnt lgkmcnt(0)
	v_dot2c_f32_f16_e32 v1, v78, v86
	v_dot2c_f32_f16_e32 v2, v78, v87
	v_dot2c_f32_f16_e32 v3, v78, v88
	v_dot2c_f32_f16_e32 v4, v78, v89
	v_dot2c_f32_f16_e32 v15, v79, v86
	v_dot2c_f32_f16_e32 v17, v79, v87
	v_dot2c_f32_f16_e32 v21, v79, v88
	v_dot2c_f32_f16_e32 v22, v79, v89
	v_dot2c_f32_f16_e32 v26, v80, v86
	v_dot2c_f32_f16_e32 v29, v80, v87
	v_dot2c_f32_f16_e32 v32, v80, v88
	v_dot2c_f32_f16_e32 v34, v80, v89
	v_dot2c_f32_f16_e32 v55, v81, v86
	v_dot2c_f32_f16_e32 v56, v81, v87
	v_dot2c_f32_f16_e32 v57, v81, v88
	v_dot2c_f32_f16_e32 v58, v81, v89
	ds_read_b128 v[82:85], v66 offset:4096
	ds_read_b128 v[86:89], v67 offset:20480
	v_dot2c_f32_f16_e32 v23, v78, v74
	v_dot2c_f32_f16_e32 v24, v78, v75
	;; [unrolled: 1-line block ×16, first 2 shown]
	ds_read_b128 v[74:77], v67 offset:20736
	ds_read_b128 v[78:81], v66 offset:4352
	s_waitcnt lgkmcnt(2)
	v_dot2c_f32_f16_e32 v25, v82, v86
	v_dot2c_f32_f16_e32 v28, v82, v87
	v_dot2c_f32_f16_e32 v31, v82, v88
	v_dot2c_f32_f16_e32 v33, v82, v89
	v_dot2c_f32_f16_e32 v11, v83, v86
	v_dot2c_f32_f16_e32 v13, v83, v87
	v_dot2c_f32_f16_e32 v16, v83, v88
	v_dot2c_f32_f16_e32 v19, v83, v89
	v_dot2c_f32_f16_e32 v12, v84, v86
	v_dot2c_f32_f16_e32 v14, v84, v87
	v_dot2c_f32_f16_e32 v18, v84, v88
	v_dot2c_f32_f16_e32 v20, v84, v89
	v_dot2c_f32_f16_e32 v7, v85, v86
	v_dot2c_f32_f16_e32 v8, v85, v87
	v_dot2c_f32_f16_e32 v9, v85, v88
	v_dot2c_f32_f16_e32 v10, v85, v89
	s_waitcnt lgkmcnt(1)
	v_dot2c_f32_f16_e32 v47, v82, v74
	v_dot2c_f32_f16_e32 v48, v82, v75
	v_dot2c_f32_f16_e32 v51, v82, v76
	v_dot2c_f32_f16_e32 v52, v82, v77
	v_dot2c_f32_f16_e32 v49, v83, v74
	v_dot2c_f32_f16_e32 v50, v83, v75
	v_dot2c_f32_f16_e32 v53, v83, v76
	v_dot2c_f32_f16_e32 v54, v83, v77
	v_dot2c_f32_f16_e32 v35, v84, v74
	v_dot2c_f32_f16_e32 v36, v84, v75
	v_dot2c_f32_f16_e32 v41, v84, v76
	v_dot2c_f32_f16_e32 v42, v84, v77
	v_dot2c_f32_f16_e32 v37, v85, v74
	v_dot2c_f32_f16_e32 v39, v85, v75
	v_dot2c_f32_f16_e32 v43, v85, v76
	v_dot2c_f32_f16_e32 v45, v85, v77
	s_waitcnt lgkmcnt(0)
	v_dot2c_f32_f16_e32 v1, v78, v86
	v_dot2c_f32_f16_e32 v2, v78, v87
	v_dot2c_f32_f16_e32 v3, v78, v88
	v_dot2c_f32_f16_e32 v4, v78, v89
	v_dot2c_f32_f16_e32 v15, v79, v86
	v_dot2c_f32_f16_e32 v17, v79, v87
	v_dot2c_f32_f16_e32 v21, v79, v88
	v_dot2c_f32_f16_e32 v22, v79, v89
	v_dot2c_f32_f16_e32 v26, v80, v86
	v_dot2c_f32_f16_e32 v29, v80, v87
	v_dot2c_f32_f16_e32 v32, v80, v88
	v_dot2c_f32_f16_e32 v34, v80, v89
	v_dot2c_f32_f16_e32 v55, v81, v86
	v_dot2c_f32_f16_e32 v56, v81, v87
	v_dot2c_f32_f16_e32 v57, v81, v88
	v_dot2c_f32_f16_e32 v58, v81, v89
	ds_read_b128 v[82:85], v66 offset:4608
	ds_read_b128 v[86:89], v67 offset:20992
	v_dot2c_f32_f16_e32 v23, v78, v74
	v_dot2c_f32_f16_e32 v24, v78, v75
	;; [unrolled: 1-line block ×16, first 2 shown]
	ds_read_b128 v[74:77], v67 offset:21248
	ds_read_b128 v[78:81], v66 offset:4864
	s_waitcnt lgkmcnt(2)
	v_dot2c_f32_f16_e32 v25, v82, v86
	v_dot2c_f32_f16_e32 v28, v82, v87
	v_dot2c_f32_f16_e32 v31, v82, v88
	v_dot2c_f32_f16_e32 v33, v82, v89
	v_dot2c_f32_f16_e32 v11, v83, v86
	v_dot2c_f32_f16_e32 v13, v83, v87
	v_dot2c_f32_f16_e32 v16, v83, v88
	v_dot2c_f32_f16_e32 v19, v83, v89
	v_dot2c_f32_f16_e32 v12, v84, v86
	v_dot2c_f32_f16_e32 v14, v84, v87
	v_dot2c_f32_f16_e32 v18, v84, v88
	v_dot2c_f32_f16_e32 v20, v84, v89
	v_dot2c_f32_f16_e32 v7, v85, v86
	v_dot2c_f32_f16_e32 v8, v85, v87
	v_dot2c_f32_f16_e32 v9, v85, v88
	v_dot2c_f32_f16_e32 v10, v85, v89
	s_waitcnt lgkmcnt(1)
	v_dot2c_f32_f16_e32 v47, v82, v74
	v_dot2c_f32_f16_e32 v48, v82, v75
	v_dot2c_f32_f16_e32 v51, v82, v76
	v_dot2c_f32_f16_e32 v52, v82, v77
	v_dot2c_f32_f16_e32 v49, v83, v74
	v_dot2c_f32_f16_e32 v50, v83, v75
	v_dot2c_f32_f16_e32 v53, v83, v76
	v_dot2c_f32_f16_e32 v54, v83, v77
	v_dot2c_f32_f16_e32 v35, v84, v74
	v_dot2c_f32_f16_e32 v36, v84, v75
	v_dot2c_f32_f16_e32 v41, v84, v76
	v_dot2c_f32_f16_e32 v42, v84, v77
	v_dot2c_f32_f16_e32 v37, v85, v74
	v_dot2c_f32_f16_e32 v39, v85, v75
	v_dot2c_f32_f16_e32 v43, v85, v76
	v_dot2c_f32_f16_e32 v45, v85, v77
	;; [unrolled: 17-line block ×3, first 2 shown]
	ds_read_b128 v[82:85], v66 offset:5120
	ds_read_b128 v[86:89], v67 offset:21504
	v_dot2c_f32_f16_e32 v23, v78, v74
	v_dot2c_f32_f16_e32 v24, v78, v75
	;; [unrolled: 1-line block ×16, first 2 shown]
	ds_read_b128 v[74:77], v67 offset:21760
	ds_read_b128 v[78:81], v66 offset:5376
	s_waitcnt lgkmcnt(2)
	v_dot2c_f32_f16_e32 v25, v82, v86
	v_dot2c_f32_f16_e32 v28, v82, v87
	v_dot2c_f32_f16_e32 v31, v82, v88
	v_dot2c_f32_f16_e32 v33, v82, v89
	v_dot2c_f32_f16_e32 v11, v83, v86
	v_dot2c_f32_f16_e32 v13, v83, v87
	v_dot2c_f32_f16_e32 v16, v83, v88
	v_dot2c_f32_f16_e32 v19, v83, v89
	v_dot2c_f32_f16_e32 v12, v84, v86
	v_dot2c_f32_f16_e32 v14, v84, v87
	v_dot2c_f32_f16_e32 v18, v84, v88
	v_dot2c_f32_f16_e32 v20, v84, v89
	v_dot2c_f32_f16_e32 v7, v85, v86
	v_dot2c_f32_f16_e32 v8, v85, v87
	v_dot2c_f32_f16_e32 v9, v85, v88
	v_dot2c_f32_f16_e32 v10, v85, v89
	s_waitcnt lgkmcnt(1)
	v_dot2c_f32_f16_e32 v47, v82, v74
	v_dot2c_f32_f16_e32 v48, v82, v75
	v_dot2c_f32_f16_e32 v51, v82, v76
	v_dot2c_f32_f16_e32 v52, v82, v77
	v_dot2c_f32_f16_e32 v49, v83, v74
	v_dot2c_f32_f16_e32 v50, v83, v75
	v_dot2c_f32_f16_e32 v53, v83, v76
	v_dot2c_f32_f16_e32 v54, v83, v77
	v_dot2c_f32_f16_e32 v35, v84, v74
	v_dot2c_f32_f16_e32 v36, v84, v75
	v_dot2c_f32_f16_e32 v41, v84, v76
	v_dot2c_f32_f16_e32 v42, v84, v77
	v_dot2c_f32_f16_e32 v37, v85, v74
	v_dot2c_f32_f16_e32 v39, v85, v75
	v_dot2c_f32_f16_e32 v43, v85, v76
	v_dot2c_f32_f16_e32 v45, v85, v77
	;; [unrolled: 17-line block ×3, first 2 shown]
	ds_read_b128 v[82:85], v66 offset:5632
	ds_read_b128 v[86:89], v67 offset:22016
	v_dot2c_f32_f16_e32 v23, v78, v74
	v_dot2c_f32_f16_e32 v24, v78, v75
	;; [unrolled: 1-line block ×16, first 2 shown]
	ds_read_b128 v[74:77], v67 offset:22272
	ds_read_b128 v[78:81], v66 offset:5888
	s_waitcnt lgkmcnt(2)
	v_dot2c_f32_f16_e32 v25, v82, v86
	v_dot2c_f32_f16_e32 v28, v82, v87
	v_dot2c_f32_f16_e32 v31, v82, v88
	v_dot2c_f32_f16_e32 v33, v82, v89
	v_dot2c_f32_f16_e32 v11, v83, v86
	v_dot2c_f32_f16_e32 v13, v83, v87
	v_dot2c_f32_f16_e32 v16, v83, v88
	v_dot2c_f32_f16_e32 v19, v83, v89
	v_dot2c_f32_f16_e32 v12, v84, v86
	v_dot2c_f32_f16_e32 v14, v84, v87
	v_dot2c_f32_f16_e32 v18, v84, v88
	v_dot2c_f32_f16_e32 v20, v84, v89
	v_dot2c_f32_f16_e32 v7, v85, v86
	v_dot2c_f32_f16_e32 v8, v85, v87
	v_dot2c_f32_f16_e32 v9, v85, v88
	v_dot2c_f32_f16_e32 v10, v85, v89
	s_waitcnt lgkmcnt(1)
	v_dot2c_f32_f16_e32 v47, v82, v74
	v_dot2c_f32_f16_e32 v48, v82, v75
	v_dot2c_f32_f16_e32 v51, v82, v76
	v_dot2c_f32_f16_e32 v52, v82, v77
	v_dot2c_f32_f16_e32 v49, v83, v74
	v_dot2c_f32_f16_e32 v50, v83, v75
	v_dot2c_f32_f16_e32 v53, v83, v76
	v_dot2c_f32_f16_e32 v54, v83, v77
	v_dot2c_f32_f16_e32 v35, v84, v74
	v_dot2c_f32_f16_e32 v36, v84, v75
	v_dot2c_f32_f16_e32 v41, v84, v76
	v_dot2c_f32_f16_e32 v42, v84, v77
	v_dot2c_f32_f16_e32 v37, v85, v74
	v_dot2c_f32_f16_e32 v39, v85, v75
	v_dot2c_f32_f16_e32 v43, v85, v76
	v_dot2c_f32_f16_e32 v45, v85, v77
	;; [unrolled: 17-line block ×3, first 2 shown]
	ds_read_b128 v[82:85], v66 offset:6144
	ds_read_b128 v[86:89], v67 offset:22528
	v_dot2c_f32_f16_e32 v23, v78, v74
	v_dot2c_f32_f16_e32 v24, v78, v75
	;; [unrolled: 1-line block ×16, first 2 shown]
	ds_read_b128 v[74:77], v67 offset:22784
	ds_read_b128 v[78:81], v66 offset:6400
	s_waitcnt lgkmcnt(2)
	v_dot2c_f32_f16_e32 v25, v82, v86
	v_dot2c_f32_f16_e32 v28, v82, v87
	v_dot2c_f32_f16_e32 v31, v82, v88
	v_dot2c_f32_f16_e32 v33, v82, v89
	v_dot2c_f32_f16_e32 v11, v83, v86
	v_dot2c_f32_f16_e32 v13, v83, v87
	v_dot2c_f32_f16_e32 v16, v83, v88
	v_dot2c_f32_f16_e32 v19, v83, v89
	v_dot2c_f32_f16_e32 v12, v84, v86
	v_dot2c_f32_f16_e32 v14, v84, v87
	v_dot2c_f32_f16_e32 v18, v84, v88
	v_dot2c_f32_f16_e32 v20, v84, v89
	v_dot2c_f32_f16_e32 v7, v85, v86
	v_dot2c_f32_f16_e32 v8, v85, v87
	v_dot2c_f32_f16_e32 v9, v85, v88
	v_dot2c_f32_f16_e32 v10, v85, v89
	s_waitcnt lgkmcnt(1)
	v_dot2c_f32_f16_e32 v47, v82, v74
	v_dot2c_f32_f16_e32 v48, v82, v75
	v_dot2c_f32_f16_e32 v51, v82, v76
	v_dot2c_f32_f16_e32 v52, v82, v77
	v_dot2c_f32_f16_e32 v49, v83, v74
	v_dot2c_f32_f16_e32 v50, v83, v75
	v_dot2c_f32_f16_e32 v53, v83, v76
	v_dot2c_f32_f16_e32 v54, v83, v77
	v_dot2c_f32_f16_e32 v35, v84, v74
	v_dot2c_f32_f16_e32 v36, v84, v75
	v_dot2c_f32_f16_e32 v41, v84, v76
	v_dot2c_f32_f16_e32 v42, v84, v77
	v_dot2c_f32_f16_e32 v37, v85, v74
	v_dot2c_f32_f16_e32 v39, v85, v75
	v_dot2c_f32_f16_e32 v43, v85, v76
	v_dot2c_f32_f16_e32 v45, v85, v77
	;; [unrolled: 17-line block ×3, first 2 shown]
	ds_read_b128 v[82:85], v66 offset:6656
	ds_read_b128 v[86:89], v67 offset:23040
	v_dot2c_f32_f16_e32 v23, v78, v74
	v_dot2c_f32_f16_e32 v24, v78, v75
	;; [unrolled: 1-line block ×16, first 2 shown]
	ds_read_b128 v[74:77], v67 offset:23296
	ds_read_b128 v[78:81], v66 offset:6912
	s_waitcnt lgkmcnt(2)
	v_dot2c_f32_f16_e32 v25, v82, v86
	v_dot2c_f32_f16_e32 v28, v82, v87
	;; [unrolled: 1-line block ×3, first 2 shown]
	s_waitcnt lgkmcnt(1)
	v_dot2c_f32_f16_e32 v47, v82, v74
	v_dot2c_f32_f16_e32 v49, v83, v74
	;; [unrolled: 1-line block ×4, first 2 shown]
	s_waitcnt lgkmcnt(0)
	v_dot2c_f32_f16_e32 v23, v78, v74
	v_dot2c_f32_f16_e32 v38, v79, v74
	;; [unrolled: 1-line block ×4, first 2 shown]
	v_lshlrev_b32_e32 v74, 1, v71
	v_subrev_u32_e32 v71, s3, v71
	s_mul_i32 s3, s2, 30
	v_lshlrev_b32_e32 v71, 1, v71
	v_add_u32_e32 v69, s3, v69
	v_dot2c_f32_f16_e32 v33, v82, v89
	v_dot2c_f32_f16_e32 v11, v83, v86
	;; [unrolled: 1-line block ×41, first 2 shown]
	ds_read_b128 v[82:85], v66 offset:7168
	ds_read_b128 v[86:89], v67 offset:23552
	v_dot2c_f32_f16_e32 v24, v78, v75
	v_dot2c_f32_f16_e32 v27, v78, v76
	;; [unrolled: 1-line block ×6, first 2 shown]
	buffer_load_dwordx2 v[78:79], v72, s[4:7], 0 offen
	buffer_load_dwordx2 v[90:91], v73, s[4:7], 0 offen
	;; [unrolled: 1-line block ×4, first 2 shown]
	v_add_lshl_u32 v70, v70, s3, 1
	v_lshlrev_b32_e32 v71, 1, v69
	v_add_u32_e32 v69, s10, v69
	buffer_load_dwordx2 v[96:97], v70, s[12:15], 0 offen
	buffer_load_dwordx2 v[98:99], v71, s[12:15], 0 offen
	v_lshlrev_b32_e32 v70, 1, v69
	v_subrev_u32_e32 v69, s2, v69
	v_lshlrev_b32_e32 v69, 1, v69
	buffer_load_dwordx2 v[100:101], v70, s[12:15], 0 offen
	buffer_load_dwordx2 v[102:103], v69, s[12:15], 0 offen
	v_dot2c_f32_f16_e32 v60, v80, v75
	v_dot2c_f32_f16_e32 v61, v80, v76
	;; [unrolled: 1-line block ×6, first 2 shown]
	ds_read_b128 v[70:73], v67 offset:23808
	ds_read_b128 v[74:77], v66 offset:7424
	s_waitcnt lgkmcnt(2)
	v_dot2c_f32_f16_e32 v25, v82, v86
	v_dot2c_f32_f16_e32 v28, v82, v87
	v_dot2c_f32_f16_e32 v31, v82, v88
	v_dot2c_f32_f16_e32 v33, v82, v89
	v_dot2c_f32_f16_e32 v11, v83, v86
	v_dot2c_f32_f16_e32 v13, v83, v87
	v_dot2c_f32_f16_e32 v16, v83, v88
	v_dot2c_f32_f16_e32 v19, v83, v89
	v_dot2c_f32_f16_e32 v12, v84, v86
	v_dot2c_f32_f16_e32 v14, v84, v87
	v_dot2c_f32_f16_e32 v18, v84, v88
	v_dot2c_f32_f16_e32 v20, v84, v89
	v_dot2c_f32_f16_e32 v7, v85, v86
	v_dot2c_f32_f16_e32 v8, v85, v87
	v_dot2c_f32_f16_e32 v9, v85, v88
	v_dot2c_f32_f16_e32 v10, v85, v89
	s_waitcnt lgkmcnt(1)
	v_dot2c_f32_f16_e32 v47, v82, v70
	v_dot2c_f32_f16_e32 v48, v82, v71
	v_dot2c_f32_f16_e32 v51, v82, v72
	v_dot2c_f32_f16_e32 v52, v82, v73
	v_dot2c_f32_f16_e32 v49, v83, v70
	v_dot2c_f32_f16_e32 v50, v83, v71
	v_dot2c_f32_f16_e32 v53, v83, v72
	v_dot2c_f32_f16_e32 v54, v83, v73
	v_dot2c_f32_f16_e32 v35, v84, v70
	v_dot2c_f32_f16_e32 v36, v84, v71
	v_dot2c_f32_f16_e32 v41, v84, v72
	v_dot2c_f32_f16_e32 v42, v84, v73
	v_dot2c_f32_f16_e32 v37, v85, v70
	v_dot2c_f32_f16_e32 v39, v85, v71
	v_dot2c_f32_f16_e32 v43, v85, v72
	v_dot2c_f32_f16_e32 v45, v85, v73
	;; [unrolled: 17-line block ×3, first 2 shown]
	v_dot2c_f32_f16_e32 v23, v74, v70
	v_dot2c_f32_f16_e32 v24, v74, v71
	;; [unrolled: 1-line block ×16, first 2 shown]
	s_waitcnt vmcnt(6)
	v_perm_b32 v73, v91, v79, s9
	v_perm_b32 v71, v90, v78, s9
	v_perm_b32 v70, v90, v78, s8
	v_perm_b32 v72, v91, v79, s8
	s_waitcnt vmcnt(4)
	v_perm_b32 v77, v93, v95, s9
	v_perm_b32 v75, v92, v94, s9
	v_perm_b32 v74, v92, v94, s8
	v_perm_b32 v76, v93, v95, s8
	;; [unrolled: 5-line block ×3, first 2 shown]
	s_waitcnt vmcnt(0)
	v_perm_b32 v85, v101, v103, s9
	v_perm_b32 v83, v100, v102, s9
	ds_read_b128 v[86:89], v66 offset:7680
	ds_read_b128 v[90:93], v67 offset:24064
	v_perm_b32 v82, v100, v102, s8
	v_perm_b32 v84, v101, v103, s8
	ds_read_b128 v[94:97], v67 offset:24320
	ds_read_b128 v[98:101], v66 offset:7936
	ds_write_b128 v68, v[70:73] offset:8192
	ds_write_b128 v68, v[74:77] offset:8704
	;; [unrolled: 1-line block ×4, first 2 shown]
	s_waitcnt lgkmcnt(0)
	s_barrier
	ds_read_b128 v[68:71], v66 offset:8192
	ds_read_b128 v[72:75], v67 offset:24576
	;; [unrolled: 1-line block ×4, first 2 shown]
	v_dot2c_f32_f16_e32 v25, v86, v90
	v_dot2c_f32_f16_e32 v28, v86, v91
	v_dot2c_f32_f16_e32 v31, v86, v92
	v_dot2c_f32_f16_e32 v33, v86, v93
	v_dot2c_f32_f16_e32 v11, v87, v90
	v_dot2c_f32_f16_e32 v13, v87, v91
	v_dot2c_f32_f16_e32 v16, v87, v92
	v_dot2c_f32_f16_e32 v19, v87, v93
	v_dot2c_f32_f16_e32 v12, v88, v90
	v_dot2c_f32_f16_e32 v14, v88, v91
	v_dot2c_f32_f16_e32 v18, v88, v92
	v_dot2c_f32_f16_e32 v20, v88, v93
	v_dot2c_f32_f16_e32 v7, v89, v90
	v_dot2c_f32_f16_e32 v8, v89, v91
	v_dot2c_f32_f16_e32 v9, v89, v92
	v_dot2c_f32_f16_e32 v10, v89, v93
	v_dot2c_f32_f16_e32 v47, v86, v94
	v_dot2c_f32_f16_e32 v48, v86, v95
	v_dot2c_f32_f16_e32 v51, v86, v96
	v_dot2c_f32_f16_e32 v52, v86, v97
	v_dot2c_f32_f16_e32 v49, v87, v94
	v_dot2c_f32_f16_e32 v50, v87, v95
	v_dot2c_f32_f16_e32 v53, v87, v96
	v_dot2c_f32_f16_e32 v54, v87, v97
	v_dot2c_f32_f16_e32 v35, v88, v94
	v_dot2c_f32_f16_e32 v36, v88, v95
	v_dot2c_f32_f16_e32 v41, v88, v96
	v_dot2c_f32_f16_e32 v42, v88, v97
	v_dot2c_f32_f16_e32 v37, v89, v94
	v_dot2c_f32_f16_e32 v39, v89, v95
	v_dot2c_f32_f16_e32 v43, v89, v96
	v_dot2c_f32_f16_e32 v45, v89, v97
	v_dot2c_f32_f16_e32 v1, v98, v90
	v_dot2c_f32_f16_e32 v2, v98, v91
	v_dot2c_f32_f16_e32 v3, v98, v92
	v_dot2c_f32_f16_e32 v4, v98, v93
	v_dot2c_f32_f16_e32 v15, v99, v90
	v_dot2c_f32_f16_e32 v17, v99, v91
	v_dot2c_f32_f16_e32 v21, v99, v92
	v_dot2c_f32_f16_e32 v22, v99, v93
	v_dot2c_f32_f16_e32 v26, v100, v90
	v_dot2c_f32_f16_e32 v29, v100, v91
	v_dot2c_f32_f16_e32 v32, v100, v92
	v_dot2c_f32_f16_e32 v34, v100, v93
	v_dot2c_f32_f16_e32 v55, v101, v90
	v_dot2c_f32_f16_e32 v56, v101, v91
	v_dot2c_f32_f16_e32 v57, v101, v92
	v_dot2c_f32_f16_e32 v58, v101, v93
	v_dot2c_f32_f16_e32 v23, v98, v94
	v_dot2c_f32_f16_e32 v24, v98, v95
	v_dot2c_f32_f16_e32 v27, v98, v96
	v_dot2c_f32_f16_e32 v30, v98, v97
	v_dot2c_f32_f16_e32 v38, v99, v94
	v_dot2c_f32_f16_e32 v40, v99, v95
	v_dot2c_f32_f16_e32 v44, v99, v96
	v_dot2c_f32_f16_e32 v46, v99, v97
	v_dot2c_f32_f16_e32 v59, v100, v94
	v_dot2c_f32_f16_e32 v60, v100, v95
	v_dot2c_f32_f16_e32 v61, v100, v96
	v_dot2c_f32_f16_e32 v62, v100, v97
	v_dot2c_f32_f16_e32 v63, v101, v94
	v_dot2c_f32_f16_e32 v64, v101, v95
	v_dot2c_f32_f16_e32 v65, v101, v96
	v_dot2c_f32_f16_e32 v0, v101, v97
	s_waitcnt lgkmcnt(2)
	v_dot2c_f32_f16_e32 v25, v68, v72
	v_dot2c_f32_f16_e32 v28, v68, v73
	;; [unrolled: 1-line block ×16, first 2 shown]
	s_waitcnt lgkmcnt(1)
	v_dot2c_f32_f16_e32 v47, v68, v76
	v_dot2c_f32_f16_e32 v48, v68, v77
	;; [unrolled: 1-line block ×16, first 2 shown]
	ds_read_b128 v[68:71], v66 offset:8704
	s_waitcnt lgkmcnt(1)
	v_dot2c_f32_f16_e32 v1, v80, v72
	v_dot2c_f32_f16_e32 v2, v80, v73
	;; [unrolled: 1-line block ×16, first 2 shown]
	ds_read_b128 v[72:75], v67 offset:25088
	v_dot2c_f32_f16_e32 v23, v80, v76
	v_dot2c_f32_f16_e32 v24, v80, v77
	;; [unrolled: 1-line block ×16, first 2 shown]
	ds_read_b128 v[76:79], v67 offset:25344
	ds_read_b128 v[80:83], v66 offset:8960
	s_waitcnt lgkmcnt(2)
	v_dot2c_f32_f16_e32 v25, v68, v72
	v_dot2c_f32_f16_e32 v28, v68, v73
	v_dot2c_f32_f16_e32 v31, v68, v74
	v_dot2c_f32_f16_e32 v33, v68, v75
	v_dot2c_f32_f16_e32 v11, v69, v72
	v_dot2c_f32_f16_e32 v13, v69, v73
	v_dot2c_f32_f16_e32 v16, v69, v74
	v_dot2c_f32_f16_e32 v19, v69, v75
	v_dot2c_f32_f16_e32 v12, v70, v72
	v_dot2c_f32_f16_e32 v14, v70, v73
	v_dot2c_f32_f16_e32 v18, v70, v74
	v_dot2c_f32_f16_e32 v20, v70, v75
	v_dot2c_f32_f16_e32 v7, v71, v72
	v_dot2c_f32_f16_e32 v8, v71, v73
	v_dot2c_f32_f16_e32 v9, v71, v74
	v_dot2c_f32_f16_e32 v10, v71, v75
	s_waitcnt lgkmcnt(1)
	v_dot2c_f32_f16_e32 v47, v68, v76
	v_dot2c_f32_f16_e32 v48, v68, v77
	;; [unrolled: 1-line block ×16, first 2 shown]
	ds_read_b128 v[68:71], v66 offset:9216
	s_waitcnt lgkmcnt(1)
	v_dot2c_f32_f16_e32 v1, v80, v72
	v_dot2c_f32_f16_e32 v2, v80, v73
	;; [unrolled: 1-line block ×16, first 2 shown]
	ds_read_b128 v[72:75], v67 offset:25600
	v_dot2c_f32_f16_e32 v23, v80, v76
	v_dot2c_f32_f16_e32 v24, v80, v77
	;; [unrolled: 1-line block ×16, first 2 shown]
	ds_read_b128 v[76:79], v67 offset:25856
	ds_read_b128 v[80:83], v66 offset:9472
	s_waitcnt lgkmcnt(2)
	v_dot2c_f32_f16_e32 v25, v68, v72
	v_dot2c_f32_f16_e32 v28, v68, v73
	;; [unrolled: 1-line block ×16, first 2 shown]
	s_waitcnt lgkmcnt(1)
	v_dot2c_f32_f16_e32 v47, v68, v76
	v_dot2c_f32_f16_e32 v48, v68, v77
	;; [unrolled: 1-line block ×16, first 2 shown]
	ds_read_b128 v[68:71], v66 offset:9728
	s_waitcnt lgkmcnt(1)
	v_dot2c_f32_f16_e32 v1, v80, v72
	v_dot2c_f32_f16_e32 v2, v80, v73
	;; [unrolled: 1-line block ×16, first 2 shown]
	ds_read_b128 v[72:75], v67 offset:26112
	v_dot2c_f32_f16_e32 v23, v80, v76
	v_dot2c_f32_f16_e32 v24, v80, v77
	;; [unrolled: 1-line block ×16, first 2 shown]
	ds_read_b128 v[76:79], v67 offset:26368
	ds_read_b128 v[80:83], v66 offset:9984
	s_waitcnt lgkmcnt(2)
	v_dot2c_f32_f16_e32 v25, v68, v72
	v_dot2c_f32_f16_e32 v28, v68, v73
	;; [unrolled: 1-line block ×16, first 2 shown]
	s_waitcnt lgkmcnt(1)
	v_dot2c_f32_f16_e32 v47, v68, v76
	v_dot2c_f32_f16_e32 v48, v68, v77
	v_dot2c_f32_f16_e32 v51, v68, v78
	v_dot2c_f32_f16_e32 v52, v68, v79
	v_dot2c_f32_f16_e32 v49, v69, v76
	v_dot2c_f32_f16_e32 v50, v69, v77
	v_dot2c_f32_f16_e32 v53, v69, v78
	v_dot2c_f32_f16_e32 v54, v69, v79
	v_dot2c_f32_f16_e32 v35, v70, v76
	v_dot2c_f32_f16_e32 v36, v70, v77
	v_dot2c_f32_f16_e32 v41, v70, v78
	v_dot2c_f32_f16_e32 v42, v70, v79
	v_dot2c_f32_f16_e32 v37, v71, v76
	v_dot2c_f32_f16_e32 v39, v71, v77
	v_dot2c_f32_f16_e32 v43, v71, v78
	v_dot2c_f32_f16_e32 v45, v71, v79
	ds_read_b128 v[68:71], v66 offset:10240
	s_waitcnt lgkmcnt(1)
	v_dot2c_f32_f16_e32 v1, v80, v72
	v_dot2c_f32_f16_e32 v2, v80, v73
	;; [unrolled: 1-line block ×16, first 2 shown]
	ds_read_b128 v[72:75], v67 offset:26624
	v_dot2c_f32_f16_e32 v23, v80, v76
	v_dot2c_f32_f16_e32 v24, v80, v77
	;; [unrolled: 1-line block ×16, first 2 shown]
	ds_read_b128 v[76:79], v67 offset:26880
	ds_read_b128 v[80:83], v66 offset:10496
	s_waitcnt lgkmcnt(2)
	v_dot2c_f32_f16_e32 v25, v68, v72
	v_dot2c_f32_f16_e32 v28, v68, v73
	;; [unrolled: 1-line block ×16, first 2 shown]
	s_waitcnt lgkmcnt(1)
	v_dot2c_f32_f16_e32 v47, v68, v76
	v_dot2c_f32_f16_e32 v48, v68, v77
	;; [unrolled: 1-line block ×16, first 2 shown]
	ds_read_b128 v[68:71], v66 offset:10752
	s_waitcnt lgkmcnt(1)
	v_dot2c_f32_f16_e32 v1, v80, v72
	v_dot2c_f32_f16_e32 v2, v80, v73
	;; [unrolled: 1-line block ×16, first 2 shown]
	ds_read_b128 v[72:75], v67 offset:27136
	v_dot2c_f32_f16_e32 v23, v80, v76
	v_dot2c_f32_f16_e32 v24, v80, v77
	;; [unrolled: 1-line block ×16, first 2 shown]
	ds_read_b128 v[76:79], v67 offset:27392
	ds_read_b128 v[80:83], v66 offset:11008
	s_waitcnt lgkmcnt(2)
	v_dot2c_f32_f16_e32 v25, v68, v72
	v_dot2c_f32_f16_e32 v28, v68, v73
	;; [unrolled: 1-line block ×16, first 2 shown]
	s_waitcnt lgkmcnt(1)
	v_dot2c_f32_f16_e32 v47, v68, v76
	v_dot2c_f32_f16_e32 v48, v68, v77
	;; [unrolled: 1-line block ×16, first 2 shown]
	ds_read_b128 v[68:71], v66 offset:11264
	s_waitcnt lgkmcnt(1)
	v_dot2c_f32_f16_e32 v1, v80, v72
	v_dot2c_f32_f16_e32 v2, v80, v73
	;; [unrolled: 1-line block ×16, first 2 shown]
	ds_read_b128 v[72:75], v67 offset:27648
	v_dot2c_f32_f16_e32 v23, v80, v76
	v_dot2c_f32_f16_e32 v24, v80, v77
	;; [unrolled: 1-line block ×16, first 2 shown]
	ds_read_b128 v[76:79], v67 offset:27904
	ds_read_b128 v[80:83], v66 offset:11520
	s_waitcnt lgkmcnt(2)
	v_dot2c_f32_f16_e32 v25, v68, v72
	v_dot2c_f32_f16_e32 v28, v68, v73
	;; [unrolled: 1-line block ×16, first 2 shown]
	s_waitcnt lgkmcnt(1)
	v_dot2c_f32_f16_e32 v47, v68, v76
	v_dot2c_f32_f16_e32 v48, v68, v77
	;; [unrolled: 1-line block ×16, first 2 shown]
	ds_read_b128 v[68:71], v66 offset:11776
	s_waitcnt lgkmcnt(1)
	v_dot2c_f32_f16_e32 v1, v80, v72
	v_dot2c_f32_f16_e32 v2, v80, v73
	;; [unrolled: 1-line block ×16, first 2 shown]
	ds_read_b128 v[72:75], v67 offset:28160
	v_dot2c_f32_f16_e32 v23, v80, v76
	v_dot2c_f32_f16_e32 v24, v80, v77
	;; [unrolled: 1-line block ×16, first 2 shown]
	ds_read_b128 v[76:79], v67 offset:28416
	ds_read_b128 v[80:83], v66 offset:12032
	s_waitcnt lgkmcnt(2)
	v_dot2c_f32_f16_e32 v25, v68, v72
	v_dot2c_f32_f16_e32 v28, v68, v73
	;; [unrolled: 1-line block ×16, first 2 shown]
	s_waitcnt lgkmcnt(1)
	v_dot2c_f32_f16_e32 v47, v68, v76
	v_dot2c_f32_f16_e32 v48, v68, v77
	;; [unrolled: 1-line block ×16, first 2 shown]
	ds_read_b128 v[68:71], v66 offset:12288
	s_waitcnt lgkmcnt(1)
	v_dot2c_f32_f16_e32 v1, v80, v72
	v_dot2c_f32_f16_e32 v2, v80, v73
	;; [unrolled: 1-line block ×16, first 2 shown]
	ds_read_b128 v[72:75], v67 offset:28672
	v_dot2c_f32_f16_e32 v23, v80, v76
	v_dot2c_f32_f16_e32 v24, v80, v77
	;; [unrolled: 1-line block ×16, first 2 shown]
	ds_read_b128 v[76:79], v67 offset:28928
	ds_read_b128 v[80:83], v66 offset:12544
	s_waitcnt lgkmcnt(2)
	v_dot2c_f32_f16_e32 v25, v68, v72
	v_dot2c_f32_f16_e32 v28, v68, v73
	;; [unrolled: 1-line block ×16, first 2 shown]
	s_waitcnt lgkmcnt(1)
	v_dot2c_f32_f16_e32 v47, v68, v76
	v_dot2c_f32_f16_e32 v48, v68, v77
	;; [unrolled: 1-line block ×16, first 2 shown]
	ds_read_b128 v[68:71], v66 offset:12800
	s_waitcnt lgkmcnt(1)
	v_dot2c_f32_f16_e32 v1, v80, v72
	v_dot2c_f32_f16_e32 v2, v80, v73
	;; [unrolled: 1-line block ×16, first 2 shown]
	ds_read_b128 v[72:75], v67 offset:29184
	v_dot2c_f32_f16_e32 v23, v80, v76
	v_dot2c_f32_f16_e32 v24, v80, v77
	;; [unrolled: 1-line block ×16, first 2 shown]
	ds_read_b128 v[76:79], v67 offset:29440
	ds_read_b128 v[80:83], v66 offset:13056
	s_waitcnt lgkmcnt(2)
	v_dot2c_f32_f16_e32 v25, v68, v72
	v_dot2c_f32_f16_e32 v28, v68, v73
	;; [unrolled: 1-line block ×16, first 2 shown]
	s_waitcnt lgkmcnt(1)
	v_dot2c_f32_f16_e32 v47, v68, v76
	v_dot2c_f32_f16_e32 v48, v68, v77
	;; [unrolled: 1-line block ×16, first 2 shown]
	ds_read_b128 v[68:71], v66 offset:13312
	s_waitcnt lgkmcnt(1)
	v_dot2c_f32_f16_e32 v1, v80, v72
	v_dot2c_f32_f16_e32 v2, v80, v73
	;; [unrolled: 1-line block ×16, first 2 shown]
	ds_read_b128 v[72:75], v67 offset:29696
	v_dot2c_f32_f16_e32 v23, v80, v76
	v_dot2c_f32_f16_e32 v24, v80, v77
	;; [unrolled: 1-line block ×16, first 2 shown]
	ds_read_b128 v[76:79], v67 offset:29952
	ds_read_b128 v[80:83], v66 offset:13568
	s_waitcnt lgkmcnt(2)
	v_dot2c_f32_f16_e32 v25, v68, v72
	v_dot2c_f32_f16_e32 v28, v68, v73
	;; [unrolled: 1-line block ×16, first 2 shown]
	s_waitcnt lgkmcnt(1)
	v_dot2c_f32_f16_e32 v47, v68, v76
	v_dot2c_f32_f16_e32 v48, v68, v77
	;; [unrolled: 1-line block ×16, first 2 shown]
	ds_read_b128 v[68:71], v66 offset:13824
	s_waitcnt lgkmcnt(1)
	v_dot2c_f32_f16_e32 v1, v80, v72
	v_dot2c_f32_f16_e32 v2, v80, v73
	;; [unrolled: 1-line block ×16, first 2 shown]
	ds_read_b128 v[72:75], v67 offset:30208
	v_dot2c_f32_f16_e32 v23, v80, v76
	v_dot2c_f32_f16_e32 v24, v80, v77
	;; [unrolled: 1-line block ×16, first 2 shown]
	ds_read_b128 v[76:79], v67 offset:30464
	ds_read_b128 v[80:83], v66 offset:14080
	s_waitcnt lgkmcnt(2)
	v_dot2c_f32_f16_e32 v25, v68, v72
	v_dot2c_f32_f16_e32 v28, v68, v73
	;; [unrolled: 1-line block ×16, first 2 shown]
	s_waitcnt lgkmcnt(1)
	v_dot2c_f32_f16_e32 v47, v68, v76
	v_dot2c_f32_f16_e32 v48, v68, v77
	;; [unrolled: 1-line block ×16, first 2 shown]
	ds_read_b128 v[68:71], v66 offset:14336
	s_waitcnt lgkmcnt(1)
	v_dot2c_f32_f16_e32 v1, v80, v72
	v_dot2c_f32_f16_e32 v2, v80, v73
	;; [unrolled: 1-line block ×16, first 2 shown]
	ds_read_b128 v[72:75], v67 offset:30720
	v_dot2c_f32_f16_e32 v23, v80, v76
	v_dot2c_f32_f16_e32 v24, v80, v77
	;; [unrolled: 1-line block ×16, first 2 shown]
	ds_read_b128 v[76:79], v67 offset:30976
	ds_read_b128 v[80:83], v66 offset:14592
	s_waitcnt lgkmcnt(2)
	v_dot2c_f32_f16_e32 v25, v68, v72
	v_dot2c_f32_f16_e32 v28, v68, v73
	;; [unrolled: 1-line block ×16, first 2 shown]
	s_waitcnt lgkmcnt(1)
	v_dot2c_f32_f16_e32 v47, v68, v76
	v_dot2c_f32_f16_e32 v48, v68, v77
	;; [unrolled: 1-line block ×16, first 2 shown]
	ds_read_b128 v[68:71], v66 offset:14848
	s_waitcnt lgkmcnt(1)
	v_dot2c_f32_f16_e32 v1, v80, v72
	v_dot2c_f32_f16_e32 v2, v80, v73
	;; [unrolled: 1-line block ×16, first 2 shown]
	ds_read_b128 v[72:75], v67 offset:31232
	v_dot2c_f32_f16_e32 v23, v80, v76
	v_dot2c_f32_f16_e32 v24, v80, v77
	;; [unrolled: 1-line block ×16, first 2 shown]
	ds_read_b128 v[76:79], v67 offset:31488
	ds_read_b128 v[80:83], v66 offset:15104
	s_waitcnt lgkmcnt(2)
	v_dot2c_f32_f16_e32 v25, v68, v72
	v_dot2c_f32_f16_e32 v28, v68, v73
	;; [unrolled: 1-line block ×16, first 2 shown]
	s_waitcnt lgkmcnt(1)
	v_dot2c_f32_f16_e32 v47, v68, v76
	v_dot2c_f32_f16_e32 v48, v68, v77
	;; [unrolled: 1-line block ×16, first 2 shown]
	ds_read_b128 v[68:71], v66 offset:15360
	s_waitcnt lgkmcnt(1)
	v_dot2c_f32_f16_e32 v1, v80, v72
	v_dot2c_f32_f16_e32 v2, v80, v73
	;; [unrolled: 1-line block ×16, first 2 shown]
	ds_read_b128 v[72:75], v67 offset:31744
	v_dot2c_f32_f16_e32 v23, v80, v76
	v_dot2c_f32_f16_e32 v24, v80, v77
	;; [unrolled: 1-line block ×16, first 2 shown]
	ds_read_b128 v[76:79], v67 offset:32000
	ds_read_b128 v[80:83], v66 offset:15616
	s_waitcnt lgkmcnt(2)
	v_dot2c_f32_f16_e32 v25, v68, v72
	v_dot2c_f32_f16_e32 v28, v68, v73
	;; [unrolled: 1-line block ×16, first 2 shown]
	s_waitcnt lgkmcnt(1)
	v_dot2c_f32_f16_e32 v47, v68, v76
	v_dot2c_f32_f16_e32 v48, v68, v77
	;; [unrolled: 1-line block ×16, first 2 shown]
	ds_read_b128 v[68:71], v66 offset:15872
	s_waitcnt lgkmcnt(1)
	v_dot2c_f32_f16_e32 v1, v80, v72
	v_dot2c_f32_f16_e32 v2, v80, v73
	;; [unrolled: 1-line block ×16, first 2 shown]
	ds_read_b128 v[72:75], v67 offset:32256
	v_dot2c_f32_f16_e32 v23, v80, v76
	v_dot2c_f32_f16_e32 v24, v80, v77
	;; [unrolled: 1-line block ×16, first 2 shown]
	ds_read_b128 v[76:79], v67 offset:32512
	ds_read_b128 v[80:83], v66 offset:16128
	s_waitcnt lgkmcnt(2)
	v_dot2c_f32_f16_e32 v25, v68, v72
	v_dot2c_f32_f16_e32 v28, v68, v73
	;; [unrolled: 1-line block ×4, first 2 shown]
	s_lshl_b32 s2, s17, 1
	v_cvt_pk_f16_f32 v66, v25, v28
	s_mov_b32 s3, s7
	v_cvt_pk_f16_f32 v67, v31, v33
	s_waitcnt lgkmcnt(1)
	v_dot2c_f32_f16_e32 v47, v68, v76
	v_dot2c_f32_f16_e32 v48, v68, v77
	v_dot2c_f32_f16_e32 v51, v68, v78
	v_dot2c_f32_f16_e32 v52, v68, v79
	v_dot2c_f32_f16_e32 v49, v69, v76
	v_dot2c_f32_f16_e32 v50, v69, v77
	v_dot2c_f32_f16_e32 v53, v69, v78
	v_dot2c_f32_f16_e32 v54, v69, v79
	buffer_store_dwordx2 v[66:67], v6, s[0:3], 0 offen
	v_add_u32_e32 v6, 64, v5
	v_dot2c_f32_f16_e32 v11, v69, v72
	v_dot2c_f32_f16_e32 v13, v69, v73
	;; [unrolled: 1-line block ×4, first 2 shown]
	v_cvt_pk_f16_f32 v67, v51, v52
	v_cvt_pk_f16_f32 v66, v47, v48
	v_lshlrev_b32_e32 v25, 1, v6
	v_cvt_pk_f16_f32 v51, v53, v54
	v_cvt_pk_f16_f32 v50, v49, v50
	v_add_lshl_u32 v6, v6, s16, 1
	v_add_u32_e32 v5, s16, v5
	v_dot2c_f32_f16_e32 v12, v70, v72
	v_dot2c_f32_f16_e32 v14, v70, v73
	;; [unrolled: 1-line block ×4, first 2 shown]
	buffer_store_dwordx2 v[66:67], v25, s[0:3], 0 offen
	buffer_store_dwordx2 v[50:51], v6, s[0:3], 0 offen
	v_cvt_pk_f16_f32 v49, v16, v19
	v_cvt_pk_f16_f32 v48, v11, v13
	v_lshlrev_b32_e32 v6, 1, v5
	v_add_u32_e32 v5, s16, v5
	buffer_store_dwordx2 v[48:49], v6, s[0:3], 0 offen
	v_cvt_pk_f16_f32 v13, v18, v20
	v_cvt_pk_f16_f32 v12, v12, v14
	v_lshlrev_b32_e32 v6, 1, v5
	v_dot2c_f32_f16_e32 v35, v70, v76
	v_dot2c_f32_f16_e32 v36, v70, v77
	;; [unrolled: 1-line block ×4, first 2 shown]
	buffer_store_dwordx2 v[12:13], v6, s[0:3], 0 offen
	v_add_u32_e32 v6, 64, v5
	v_dot2c_f32_f16_e32 v37, v71, v76
	v_dot2c_f32_f16_e32 v39, v71, v77
	;; [unrolled: 1-line block ×4, first 2 shown]
	v_cvt_pk_f16_f32 v13, v41, v42
	v_cvt_pk_f16_f32 v12, v35, v36
	v_lshlrev_b32_e32 v11, 1, v6
	v_dot2c_f32_f16_e32 v7, v71, v72
	v_dot2c_f32_f16_e32 v8, v71, v73
	;; [unrolled: 1-line block ×4, first 2 shown]
	buffer_store_dwordx2 v[12:13], v11, s[0:3], 0 offen
	v_cvt_pk_f16_f32 v13, v43, v45
	v_cvt_pk_f16_f32 v12, v37, v39
	v_add_lshl_u32 v6, v6, s16, 1
	v_add_u32_e32 v5, s16, v5
	s_waitcnt lgkmcnt(0)
	v_dot2c_f32_f16_e32 v55, v83, v72
	v_dot2c_f32_f16_e32 v56, v83, v73
	;; [unrolled: 1-line block ×4, first 2 shown]
	buffer_store_dwordx2 v[12:13], v6, s[0:3], 0 offen
	v_cvt_pk_f16_f32 v9, v9, v10
	v_cvt_pk_f16_f32 v8, v7, v8
	v_lshlrev_b32_e32 v6, 1, v5
	v_lshl_add_u32 v5, s16, 6, v5
	v_dot2c_f32_f16_e32 v63, v83, v76
	v_dot2c_f32_f16_e32 v64, v83, v77
	;; [unrolled: 1-line block ×4, first 2 shown]
	buffer_store_dwordx2 v[8:9], v6, s[0:3], 0 offen
	v_cvt_pk_f16_f32 v7, v57, v58
	v_cvt_pk_f16_f32 v6, v55, v56
	v_lshlrev_b32_e32 v8, 1, v5
	v_add_u32_e32 v5, 64, v5
	buffer_store_dwordx2 v[6:7], v8, s[0:3], 0 offen
	v_cvt_pk_f16_f32 v7, v65, v0
	v_cvt_pk_f16_f32 v6, v63, v64
	v_lshlrev_b32_e32 v0, 1, v5
	v_dot2c_f32_f16_e32 v59, v82, v76
	v_dot2c_f32_f16_e32 v60, v82, v77
	;; [unrolled: 1-line block ×4, first 2 shown]
	buffer_store_dwordx2 v[6:7], v0, s[0:3], 0 offen
	v_subrev_u32_e32 v0, s16, v5
	v_dot2c_f32_f16_e32 v26, v82, v72
	v_dot2c_f32_f16_e32 v29, v82, v73
	;; [unrolled: 1-line block ×4, first 2 shown]
	v_cvt_pk_f16_f32 v7, v61, v62
	v_cvt_pk_f16_f32 v6, v59, v60
	v_lshlrev_b32_e32 v5, 1, v0
	v_subrev_u32_e32 v0, 64, v0
	v_dot2c_f32_f16_e32 v15, v81, v72
	v_dot2c_f32_f16_e32 v17, v81, v73
	;; [unrolled: 1-line block ×4, first 2 shown]
	buffer_store_dwordx2 v[6:7], v5, s[0:3], 0 offen
	v_cvt_pk_f16_f32 v7, v32, v34
	v_cvt_pk_f16_f32 v6, v26, v29
	v_lshlrev_b32_e32 v5, 1, v0
	v_subrev_u32_e32 v0, s16, v0
	v_dot2c_f32_f16_e32 v38, v81, v76
	v_dot2c_f32_f16_e32 v40, v81, v77
	v_dot2c_f32_f16_e32 v44, v81, v78
	v_dot2c_f32_f16_e32 v46, v81, v79
	buffer_store_dwordx2 v[6:7], v5, s[0:3], 0 offen
	v_cvt_pk_f16_f32 v7, v21, v22
	v_cvt_pk_f16_f32 v6, v15, v17
	v_lshlrev_b32_e32 v5, 1, v0
	v_add_u32_e32 v0, 64, v0
	v_dot2c_f32_f16_e32 v23, v80, v76
	v_dot2c_f32_f16_e32 v24, v80, v77
	;; [unrolled: 1-line block ×4, first 2 shown]
	buffer_store_dwordx2 v[6:7], v5, s[0:3], 0 offen
	v_cvt_pk_f16_f32 v7, v44, v46
	v_cvt_pk_f16_f32 v6, v38, v40
	v_lshlrev_b32_e32 v5, 1, v0
	v_subrev_u32_e32 v0, s16, v0
	v_dot2c_f32_f16_e32 v1, v80, v72
	v_dot2c_f32_f16_e32 v2, v80, v73
	;; [unrolled: 1-line block ×4, first 2 shown]
	buffer_store_dwordx2 v[6:7], v5, s[0:3], 0 offen
	v_cvt_pk_f16_f32 v7, v27, v30
	v_cvt_pk_f16_f32 v6, v23, v24
	v_lshlrev_b32_e32 v0, 1, v0
	buffer_store_dwordx2 v[6:7], v0, s[0:3], 0 offen
	v_cvt_pk_f16_f32 v3, v3, v4
	v_cvt_pk_f16_f32 v2, v1, v2
	v_add_u32_e32 v0, 0xffffff80, v0
	buffer_store_dwordx2 v[2:3], v0, s[0:3], 0 offen
	s_endpgm
	.section	.rodata,"a",@progbits
	.p2align	6, 0x0
	.amdhsa_kernel _ZN2ck19kernel_gemm_dl_v1r3INS_28GridwiseGemmDl_km_kn_mn_v1r3ILi256EDF16_fDF16_LNS_25InMemoryDataOperationEnumE0ENS_16TensorDescriptorINS_5TupleIJNS_5EmbedINS4_IJiiEEENS4_IJNS_17integral_constantIiLi1EEEiEEELb0EEENS_7UnMergeINS4_IJiNS7_IiLi2EEEEEELb0EEENS_11PassThroughIiEEEEENS4_IJNS_8SequenceIJLi0EEEENSI_IJLi2EEEENSI_IJLi1EEEEEEENS4_IJNSI_IJLi1ELi2EEEENSI_IJLi3ELi4EEEENSI_IJLi5EEEEEEENSI_IJLi3ELi5ELi4EEEElEENS3_INS4_IJNS5_IS6_NS4_IJiS8_EEELb0EEESE_SG_EEENS4_IJSJ_SL_SK_EEESQ_SR_lEENS3_INS4_IJSU_SG_SG_EEESW_NS4_IJSN_NSI_IJLi3EEEENSI_IJLi4EEEEEEESO_lEELi128ELi128ELi16ELi2ELi4ELi4ELi1ENSI_IJLi8ELi2EEEES13_NSI_IJLi2ELi1ELi4ELi2EEEENSI_IJLi8ELi1ELi32ELi1EEEENSI_IJLi0ELi3ELi1ELi2EEEES16_NSI_IJLi1ELi1ELi4ELi1EEEES16_NSI_IJLi1ELi1ELi4ELi2EEEES14_S15_S16_S16_S17_S16_S18_NSI_IJLi0ELi1ELi2ELi3ELi4ELi5EEEELi5ELi4EEEDF16_DF16_NS3_INS4_IJSA_SE_SG_SG_NSB_INS4_IJiNS7_IiLi128EEEEEELb0EEENSF_ISC_EEEEENS4_IJSJ_SK_SL_SZ_SP_S10_EEENS4_IJSN_SO_SP_NSI_IJLi6EEEENSI_IJLi7ELi8EEEENSI_IJLi9EEEEEEENSI_IJLi6ELi7ELi8ELi9EEEElEENS3_INS4_IJSU_SE_SG_SG_S1D_S1E_EEENS4_IJSJ_SL_SK_SZ_SP_S10_EEES1K_S1L_lEENS3_INS4_IJSU_SG_SG_NSB_INS4_IJiSC_NS7_IiLi64EEEEEELb0EEES1S_EEENS4_IJSJ_SL_SK_SZ_S10_EEENS4_IJSN_SZ_S10_NSI_IJLi5ELi6ELi7EEEENSI_IJLi8ELi9ELi10EEEEEEENSI_IJLi5ELi6ELi7ELi8ELi9ELi10EEEElEENS_31BlockToCTileMap_M00_N00_M01_N01ILi128ELi128ES12_Lb0EEELb0ELb1EEEvPKT0_S24_PT1_T2_T3_T4_T5_
		.amdhsa_group_segment_fixed_size 32768
		.amdhsa_private_segment_fixed_size 0
		.amdhsa_kernarg_size 328
		.amdhsa_user_sgpr_count 2
		.amdhsa_user_sgpr_dispatch_ptr 0
		.amdhsa_user_sgpr_queue_ptr 0
		.amdhsa_user_sgpr_kernarg_segment_ptr 1
		.amdhsa_user_sgpr_dispatch_id 0
		.amdhsa_user_sgpr_kernarg_preload_length 0
		.amdhsa_user_sgpr_kernarg_preload_offset 0
		.amdhsa_user_sgpr_private_segment_size 0
		.amdhsa_uses_dynamic_stack 0
		.amdhsa_enable_private_segment 0
		.amdhsa_system_sgpr_workgroup_id_x 1
		.amdhsa_system_sgpr_workgroup_id_y 0
		.amdhsa_system_sgpr_workgroup_id_z 0
		.amdhsa_system_sgpr_workgroup_info 0
		.amdhsa_system_vgpr_workitem_id 0
		.amdhsa_next_free_vgpr 104
		.amdhsa_next_free_sgpr 96
		.amdhsa_accum_offset 104
		.amdhsa_reserve_vcc 0
		.amdhsa_float_round_mode_32 0
		.amdhsa_float_round_mode_16_64 0
		.amdhsa_float_denorm_mode_32 3
		.amdhsa_float_denorm_mode_16_64 3
		.amdhsa_dx10_clamp 1
		.amdhsa_ieee_mode 1
		.amdhsa_fp16_overflow 0
		.amdhsa_tg_split 0
		.amdhsa_exception_fp_ieee_invalid_op 0
		.amdhsa_exception_fp_denorm_src 0
		.amdhsa_exception_fp_ieee_div_zero 0
		.amdhsa_exception_fp_ieee_overflow 0
		.amdhsa_exception_fp_ieee_underflow 0
		.amdhsa_exception_fp_ieee_inexact 0
		.amdhsa_exception_int_div_zero 0
	.end_amdhsa_kernel
	.section	.text._ZN2ck19kernel_gemm_dl_v1r3INS_28GridwiseGemmDl_km_kn_mn_v1r3ILi256EDF16_fDF16_LNS_25InMemoryDataOperationEnumE0ENS_16TensorDescriptorINS_5TupleIJNS_5EmbedINS4_IJiiEEENS4_IJNS_17integral_constantIiLi1EEEiEEELb0EEENS_7UnMergeINS4_IJiNS7_IiLi2EEEEEELb0EEENS_11PassThroughIiEEEEENS4_IJNS_8SequenceIJLi0EEEENSI_IJLi2EEEENSI_IJLi1EEEEEEENS4_IJNSI_IJLi1ELi2EEEENSI_IJLi3ELi4EEEENSI_IJLi5EEEEEEENSI_IJLi3ELi5ELi4EEEElEENS3_INS4_IJNS5_IS6_NS4_IJiS8_EEELb0EEESE_SG_EEENS4_IJSJ_SL_SK_EEESQ_SR_lEENS3_INS4_IJSU_SG_SG_EEESW_NS4_IJSN_NSI_IJLi3EEEENSI_IJLi4EEEEEEESO_lEELi128ELi128ELi16ELi2ELi4ELi4ELi1ENSI_IJLi8ELi2EEEES13_NSI_IJLi2ELi1ELi4ELi2EEEENSI_IJLi8ELi1ELi32ELi1EEEENSI_IJLi0ELi3ELi1ELi2EEEES16_NSI_IJLi1ELi1ELi4ELi1EEEES16_NSI_IJLi1ELi1ELi4ELi2EEEES14_S15_S16_S16_S17_S16_S18_NSI_IJLi0ELi1ELi2ELi3ELi4ELi5EEEELi5ELi4EEEDF16_DF16_NS3_INS4_IJSA_SE_SG_SG_NSB_INS4_IJiNS7_IiLi128EEEEEELb0EEENSF_ISC_EEEEENS4_IJSJ_SK_SL_SZ_SP_S10_EEENS4_IJSN_SO_SP_NSI_IJLi6EEEENSI_IJLi7ELi8EEEENSI_IJLi9EEEEEEENSI_IJLi6ELi7ELi8ELi9EEEElEENS3_INS4_IJSU_SE_SG_SG_S1D_S1E_EEENS4_IJSJ_SL_SK_SZ_SP_S10_EEES1K_S1L_lEENS3_INS4_IJSU_SG_SG_NSB_INS4_IJiSC_NS7_IiLi64EEEEEELb0EEES1S_EEENS4_IJSJ_SL_SK_SZ_S10_EEENS4_IJSN_SZ_S10_NSI_IJLi5ELi6ELi7EEEENSI_IJLi8ELi9ELi10EEEEEEENSI_IJLi5ELi6ELi7ELi8ELi9ELi10EEEElEENS_31BlockToCTileMap_M00_N00_M01_N01ILi128ELi128ES12_Lb0EEELb0ELb1EEEvPKT0_S24_PT1_T2_T3_T4_T5_,"axG",@progbits,_ZN2ck19kernel_gemm_dl_v1r3INS_28GridwiseGemmDl_km_kn_mn_v1r3ILi256EDF16_fDF16_LNS_25InMemoryDataOperationEnumE0ENS_16TensorDescriptorINS_5TupleIJNS_5EmbedINS4_IJiiEEENS4_IJNS_17integral_constantIiLi1EEEiEEELb0EEENS_7UnMergeINS4_IJiNS7_IiLi2EEEEEELb0EEENS_11PassThroughIiEEEEENS4_IJNS_8SequenceIJLi0EEEENSI_IJLi2EEEENSI_IJLi1EEEEEEENS4_IJNSI_IJLi1ELi2EEEENSI_IJLi3ELi4EEEENSI_IJLi5EEEEEEENSI_IJLi3ELi5ELi4EEEElEENS3_INS4_IJNS5_IS6_NS4_IJiS8_EEELb0EEESE_SG_EEENS4_IJSJ_SL_SK_EEESQ_SR_lEENS3_INS4_IJSU_SG_SG_EEESW_NS4_IJSN_NSI_IJLi3EEEENSI_IJLi4EEEEEEESO_lEELi128ELi128ELi16ELi2ELi4ELi4ELi1ENSI_IJLi8ELi2EEEES13_NSI_IJLi2ELi1ELi4ELi2EEEENSI_IJLi8ELi1ELi32ELi1EEEENSI_IJLi0ELi3ELi1ELi2EEEES16_NSI_IJLi1ELi1ELi4ELi1EEEES16_NSI_IJLi1ELi1ELi4ELi2EEEES14_S15_S16_S16_S17_S16_S18_NSI_IJLi0ELi1ELi2ELi3ELi4ELi5EEEELi5ELi4EEEDF16_DF16_NS3_INS4_IJSA_SE_SG_SG_NSB_INS4_IJiNS7_IiLi128EEEEEELb0EEENSF_ISC_EEEEENS4_IJSJ_SK_SL_SZ_SP_S10_EEENS4_IJSN_SO_SP_NSI_IJLi6EEEENSI_IJLi7ELi8EEEENSI_IJLi9EEEEEEENSI_IJLi6ELi7ELi8ELi9EEEElEENS3_INS4_IJSU_SE_SG_SG_S1D_S1E_EEENS4_IJSJ_SL_SK_SZ_SP_S10_EEES1K_S1L_lEENS3_INS4_IJSU_SG_SG_NSB_INS4_IJiSC_NS7_IiLi64EEEEEELb0EEES1S_EEENS4_IJSJ_SL_SK_SZ_S10_EEENS4_IJSN_SZ_S10_NSI_IJLi5ELi6ELi7EEEENSI_IJLi8ELi9ELi10EEEEEEENSI_IJLi5ELi6ELi7ELi8ELi9ELi10EEEElEENS_31BlockToCTileMap_M00_N00_M01_N01ILi128ELi128ES12_Lb0EEELb0ELb1EEEvPKT0_S24_PT1_T2_T3_T4_T5_,comdat
.Lfunc_end3:
	.size	_ZN2ck19kernel_gemm_dl_v1r3INS_28GridwiseGemmDl_km_kn_mn_v1r3ILi256EDF16_fDF16_LNS_25InMemoryDataOperationEnumE0ENS_16TensorDescriptorINS_5TupleIJNS_5EmbedINS4_IJiiEEENS4_IJNS_17integral_constantIiLi1EEEiEEELb0EEENS_7UnMergeINS4_IJiNS7_IiLi2EEEEEELb0EEENS_11PassThroughIiEEEEENS4_IJNS_8SequenceIJLi0EEEENSI_IJLi2EEEENSI_IJLi1EEEEEEENS4_IJNSI_IJLi1ELi2EEEENSI_IJLi3ELi4EEEENSI_IJLi5EEEEEEENSI_IJLi3ELi5ELi4EEEElEENS3_INS4_IJNS5_IS6_NS4_IJiS8_EEELb0EEESE_SG_EEENS4_IJSJ_SL_SK_EEESQ_SR_lEENS3_INS4_IJSU_SG_SG_EEESW_NS4_IJSN_NSI_IJLi3EEEENSI_IJLi4EEEEEEESO_lEELi128ELi128ELi16ELi2ELi4ELi4ELi1ENSI_IJLi8ELi2EEEES13_NSI_IJLi2ELi1ELi4ELi2EEEENSI_IJLi8ELi1ELi32ELi1EEEENSI_IJLi0ELi3ELi1ELi2EEEES16_NSI_IJLi1ELi1ELi4ELi1EEEES16_NSI_IJLi1ELi1ELi4ELi2EEEES14_S15_S16_S16_S17_S16_S18_NSI_IJLi0ELi1ELi2ELi3ELi4ELi5EEEELi5ELi4EEEDF16_DF16_NS3_INS4_IJSA_SE_SG_SG_NSB_INS4_IJiNS7_IiLi128EEEEEELb0EEENSF_ISC_EEEEENS4_IJSJ_SK_SL_SZ_SP_S10_EEENS4_IJSN_SO_SP_NSI_IJLi6EEEENSI_IJLi7ELi8EEEENSI_IJLi9EEEEEEENSI_IJLi6ELi7ELi8ELi9EEEElEENS3_INS4_IJSU_SE_SG_SG_S1D_S1E_EEENS4_IJSJ_SL_SK_SZ_SP_S10_EEES1K_S1L_lEENS3_INS4_IJSU_SG_SG_NSB_INS4_IJiSC_NS7_IiLi64EEEEEELb0EEES1S_EEENS4_IJSJ_SL_SK_SZ_S10_EEENS4_IJSN_SZ_S10_NSI_IJLi5ELi6ELi7EEEENSI_IJLi8ELi9ELi10EEEEEEENSI_IJLi5ELi6ELi7ELi8ELi9ELi10EEEElEENS_31BlockToCTileMap_M00_N00_M01_N01ILi128ELi128ES12_Lb0EEELb0ELb1EEEvPKT0_S24_PT1_T2_T3_T4_T5_, .Lfunc_end3-_ZN2ck19kernel_gemm_dl_v1r3INS_28GridwiseGemmDl_km_kn_mn_v1r3ILi256EDF16_fDF16_LNS_25InMemoryDataOperationEnumE0ENS_16TensorDescriptorINS_5TupleIJNS_5EmbedINS4_IJiiEEENS4_IJNS_17integral_constantIiLi1EEEiEEELb0EEENS_7UnMergeINS4_IJiNS7_IiLi2EEEEEELb0EEENS_11PassThroughIiEEEEENS4_IJNS_8SequenceIJLi0EEEENSI_IJLi2EEEENSI_IJLi1EEEEEEENS4_IJNSI_IJLi1ELi2EEEENSI_IJLi3ELi4EEEENSI_IJLi5EEEEEEENSI_IJLi3ELi5ELi4EEEElEENS3_INS4_IJNS5_IS6_NS4_IJiS8_EEELb0EEESE_SG_EEENS4_IJSJ_SL_SK_EEESQ_SR_lEENS3_INS4_IJSU_SG_SG_EEESW_NS4_IJSN_NSI_IJLi3EEEENSI_IJLi4EEEEEEESO_lEELi128ELi128ELi16ELi2ELi4ELi4ELi1ENSI_IJLi8ELi2EEEES13_NSI_IJLi2ELi1ELi4ELi2EEEENSI_IJLi8ELi1ELi32ELi1EEEENSI_IJLi0ELi3ELi1ELi2EEEES16_NSI_IJLi1ELi1ELi4ELi1EEEES16_NSI_IJLi1ELi1ELi4ELi2EEEES14_S15_S16_S16_S17_S16_S18_NSI_IJLi0ELi1ELi2ELi3ELi4ELi5EEEELi5ELi4EEEDF16_DF16_NS3_INS4_IJSA_SE_SG_SG_NSB_INS4_IJiNS7_IiLi128EEEEEELb0EEENSF_ISC_EEEEENS4_IJSJ_SK_SL_SZ_SP_S10_EEENS4_IJSN_SO_SP_NSI_IJLi6EEEENSI_IJLi7ELi8EEEENSI_IJLi9EEEEEEENSI_IJLi6ELi7ELi8ELi9EEEElEENS3_INS4_IJSU_SE_SG_SG_S1D_S1E_EEENS4_IJSJ_SL_SK_SZ_SP_S10_EEES1K_S1L_lEENS3_INS4_IJSU_SG_SG_NSB_INS4_IJiSC_NS7_IiLi64EEEEEELb0EEES1S_EEENS4_IJSJ_SL_SK_SZ_S10_EEENS4_IJSN_SZ_S10_NSI_IJLi5ELi6ELi7EEEENSI_IJLi8ELi9ELi10EEEEEEENSI_IJLi5ELi6ELi7ELi8ELi9ELi10EEEElEENS_31BlockToCTileMap_M00_N00_M01_N01ILi128ELi128ES12_Lb0EEELb0ELb1EEEvPKT0_S24_PT1_T2_T3_T4_T5_
                                        ; -- End function
	.set _ZN2ck19kernel_gemm_dl_v1r3INS_28GridwiseGemmDl_km_kn_mn_v1r3ILi256EDF16_fDF16_LNS_25InMemoryDataOperationEnumE0ENS_16TensorDescriptorINS_5TupleIJNS_5EmbedINS4_IJiiEEENS4_IJNS_17integral_constantIiLi1EEEiEEELb0EEENS_7UnMergeINS4_IJiNS7_IiLi2EEEEEELb0EEENS_11PassThroughIiEEEEENS4_IJNS_8SequenceIJLi0EEEENSI_IJLi2EEEENSI_IJLi1EEEEEEENS4_IJNSI_IJLi1ELi2EEEENSI_IJLi3ELi4EEEENSI_IJLi5EEEEEEENSI_IJLi3ELi5ELi4EEEElEENS3_INS4_IJNS5_IS6_NS4_IJiS8_EEELb0EEESE_SG_EEENS4_IJSJ_SL_SK_EEESQ_SR_lEENS3_INS4_IJSU_SG_SG_EEESW_NS4_IJSN_NSI_IJLi3EEEENSI_IJLi4EEEEEEESO_lEELi128ELi128ELi16ELi2ELi4ELi4ELi1ENSI_IJLi8ELi2EEEES13_NSI_IJLi2ELi1ELi4ELi2EEEENSI_IJLi8ELi1ELi32ELi1EEEENSI_IJLi0ELi3ELi1ELi2EEEES16_NSI_IJLi1ELi1ELi4ELi1EEEES16_NSI_IJLi1ELi1ELi4ELi2EEEES14_S15_S16_S16_S17_S16_S18_NSI_IJLi0ELi1ELi2ELi3ELi4ELi5EEEELi5ELi4EEEDF16_DF16_NS3_INS4_IJSA_SE_SG_SG_NSB_INS4_IJiNS7_IiLi128EEEEEELb0EEENSF_ISC_EEEEENS4_IJSJ_SK_SL_SZ_SP_S10_EEENS4_IJSN_SO_SP_NSI_IJLi6EEEENSI_IJLi7ELi8EEEENSI_IJLi9EEEEEEENSI_IJLi6ELi7ELi8ELi9EEEElEENS3_INS4_IJSU_SE_SG_SG_S1D_S1E_EEENS4_IJSJ_SL_SK_SZ_SP_S10_EEES1K_S1L_lEENS3_INS4_IJSU_SG_SG_NSB_INS4_IJiSC_NS7_IiLi64EEEEEELb0EEES1S_EEENS4_IJSJ_SL_SK_SZ_S10_EEENS4_IJSN_SZ_S10_NSI_IJLi5ELi6ELi7EEEENSI_IJLi8ELi9ELi10EEEEEEENSI_IJLi5ELi6ELi7ELi8ELi9ELi10EEEElEENS_31BlockToCTileMap_M00_N00_M01_N01ILi128ELi128ES12_Lb0EEELb0ELb1EEEvPKT0_S24_PT1_T2_T3_T4_T5_.num_vgpr, 104
	.set _ZN2ck19kernel_gemm_dl_v1r3INS_28GridwiseGemmDl_km_kn_mn_v1r3ILi256EDF16_fDF16_LNS_25InMemoryDataOperationEnumE0ENS_16TensorDescriptorINS_5TupleIJNS_5EmbedINS4_IJiiEEENS4_IJNS_17integral_constantIiLi1EEEiEEELb0EEENS_7UnMergeINS4_IJiNS7_IiLi2EEEEEELb0EEENS_11PassThroughIiEEEEENS4_IJNS_8SequenceIJLi0EEEENSI_IJLi2EEEENSI_IJLi1EEEEEEENS4_IJNSI_IJLi1ELi2EEEENSI_IJLi3ELi4EEEENSI_IJLi5EEEEEEENSI_IJLi3ELi5ELi4EEEElEENS3_INS4_IJNS5_IS6_NS4_IJiS8_EEELb0EEESE_SG_EEENS4_IJSJ_SL_SK_EEESQ_SR_lEENS3_INS4_IJSU_SG_SG_EEESW_NS4_IJSN_NSI_IJLi3EEEENSI_IJLi4EEEEEEESO_lEELi128ELi128ELi16ELi2ELi4ELi4ELi1ENSI_IJLi8ELi2EEEES13_NSI_IJLi2ELi1ELi4ELi2EEEENSI_IJLi8ELi1ELi32ELi1EEEENSI_IJLi0ELi3ELi1ELi2EEEES16_NSI_IJLi1ELi1ELi4ELi1EEEES16_NSI_IJLi1ELi1ELi4ELi2EEEES14_S15_S16_S16_S17_S16_S18_NSI_IJLi0ELi1ELi2ELi3ELi4ELi5EEEELi5ELi4EEEDF16_DF16_NS3_INS4_IJSA_SE_SG_SG_NSB_INS4_IJiNS7_IiLi128EEEEEELb0EEENSF_ISC_EEEEENS4_IJSJ_SK_SL_SZ_SP_S10_EEENS4_IJSN_SO_SP_NSI_IJLi6EEEENSI_IJLi7ELi8EEEENSI_IJLi9EEEEEEENSI_IJLi6ELi7ELi8ELi9EEEElEENS3_INS4_IJSU_SE_SG_SG_S1D_S1E_EEENS4_IJSJ_SL_SK_SZ_SP_S10_EEES1K_S1L_lEENS3_INS4_IJSU_SG_SG_NSB_INS4_IJiSC_NS7_IiLi64EEEEEELb0EEES1S_EEENS4_IJSJ_SL_SK_SZ_S10_EEENS4_IJSN_SZ_S10_NSI_IJLi5ELi6ELi7EEEENSI_IJLi8ELi9ELi10EEEEEEENSI_IJLi5ELi6ELi7ELi8ELi9ELi10EEEElEENS_31BlockToCTileMap_M00_N00_M01_N01ILi128ELi128ES12_Lb0EEELb0ELb1EEEvPKT0_S24_PT1_T2_T3_T4_T5_.num_agpr, 0
	.set _ZN2ck19kernel_gemm_dl_v1r3INS_28GridwiseGemmDl_km_kn_mn_v1r3ILi256EDF16_fDF16_LNS_25InMemoryDataOperationEnumE0ENS_16TensorDescriptorINS_5TupleIJNS_5EmbedINS4_IJiiEEENS4_IJNS_17integral_constantIiLi1EEEiEEELb0EEENS_7UnMergeINS4_IJiNS7_IiLi2EEEEEELb0EEENS_11PassThroughIiEEEEENS4_IJNS_8SequenceIJLi0EEEENSI_IJLi2EEEENSI_IJLi1EEEEEEENS4_IJNSI_IJLi1ELi2EEEENSI_IJLi3ELi4EEEENSI_IJLi5EEEEEEENSI_IJLi3ELi5ELi4EEEElEENS3_INS4_IJNS5_IS6_NS4_IJiS8_EEELb0EEESE_SG_EEENS4_IJSJ_SL_SK_EEESQ_SR_lEENS3_INS4_IJSU_SG_SG_EEESW_NS4_IJSN_NSI_IJLi3EEEENSI_IJLi4EEEEEEESO_lEELi128ELi128ELi16ELi2ELi4ELi4ELi1ENSI_IJLi8ELi2EEEES13_NSI_IJLi2ELi1ELi4ELi2EEEENSI_IJLi8ELi1ELi32ELi1EEEENSI_IJLi0ELi3ELi1ELi2EEEES16_NSI_IJLi1ELi1ELi4ELi1EEEES16_NSI_IJLi1ELi1ELi4ELi2EEEES14_S15_S16_S16_S17_S16_S18_NSI_IJLi0ELi1ELi2ELi3ELi4ELi5EEEELi5ELi4EEEDF16_DF16_NS3_INS4_IJSA_SE_SG_SG_NSB_INS4_IJiNS7_IiLi128EEEEEELb0EEENSF_ISC_EEEEENS4_IJSJ_SK_SL_SZ_SP_S10_EEENS4_IJSN_SO_SP_NSI_IJLi6EEEENSI_IJLi7ELi8EEEENSI_IJLi9EEEEEEENSI_IJLi6ELi7ELi8ELi9EEEElEENS3_INS4_IJSU_SE_SG_SG_S1D_S1E_EEENS4_IJSJ_SL_SK_SZ_SP_S10_EEES1K_S1L_lEENS3_INS4_IJSU_SG_SG_NSB_INS4_IJiSC_NS7_IiLi64EEEEEELb0EEES1S_EEENS4_IJSJ_SL_SK_SZ_S10_EEENS4_IJSN_SZ_S10_NSI_IJLi5ELi6ELi7EEEENSI_IJLi8ELi9ELi10EEEEEEENSI_IJLi5ELi6ELi7ELi8ELi9ELi10EEEElEENS_31BlockToCTileMap_M00_N00_M01_N01ILi128ELi128ES12_Lb0EEELb0ELb1EEEvPKT0_S24_PT1_T2_T3_T4_T5_.numbered_sgpr, 24
	.set _ZN2ck19kernel_gemm_dl_v1r3INS_28GridwiseGemmDl_km_kn_mn_v1r3ILi256EDF16_fDF16_LNS_25InMemoryDataOperationEnumE0ENS_16TensorDescriptorINS_5TupleIJNS_5EmbedINS4_IJiiEEENS4_IJNS_17integral_constantIiLi1EEEiEEELb0EEENS_7UnMergeINS4_IJiNS7_IiLi2EEEEEELb0EEENS_11PassThroughIiEEEEENS4_IJNS_8SequenceIJLi0EEEENSI_IJLi2EEEENSI_IJLi1EEEEEEENS4_IJNSI_IJLi1ELi2EEEENSI_IJLi3ELi4EEEENSI_IJLi5EEEEEEENSI_IJLi3ELi5ELi4EEEElEENS3_INS4_IJNS5_IS6_NS4_IJiS8_EEELb0EEESE_SG_EEENS4_IJSJ_SL_SK_EEESQ_SR_lEENS3_INS4_IJSU_SG_SG_EEESW_NS4_IJSN_NSI_IJLi3EEEENSI_IJLi4EEEEEEESO_lEELi128ELi128ELi16ELi2ELi4ELi4ELi1ENSI_IJLi8ELi2EEEES13_NSI_IJLi2ELi1ELi4ELi2EEEENSI_IJLi8ELi1ELi32ELi1EEEENSI_IJLi0ELi3ELi1ELi2EEEES16_NSI_IJLi1ELi1ELi4ELi1EEEES16_NSI_IJLi1ELi1ELi4ELi2EEEES14_S15_S16_S16_S17_S16_S18_NSI_IJLi0ELi1ELi2ELi3ELi4ELi5EEEELi5ELi4EEEDF16_DF16_NS3_INS4_IJSA_SE_SG_SG_NSB_INS4_IJiNS7_IiLi128EEEEEELb0EEENSF_ISC_EEEEENS4_IJSJ_SK_SL_SZ_SP_S10_EEENS4_IJSN_SO_SP_NSI_IJLi6EEEENSI_IJLi7ELi8EEEENSI_IJLi9EEEEEEENSI_IJLi6ELi7ELi8ELi9EEEElEENS3_INS4_IJSU_SE_SG_SG_S1D_S1E_EEENS4_IJSJ_SL_SK_SZ_SP_S10_EEES1K_S1L_lEENS3_INS4_IJSU_SG_SG_NSB_INS4_IJiSC_NS7_IiLi64EEEEEELb0EEES1S_EEENS4_IJSJ_SL_SK_SZ_S10_EEENS4_IJSN_SZ_S10_NSI_IJLi5ELi6ELi7EEEENSI_IJLi8ELi9ELi10EEEEEEENSI_IJLi5ELi6ELi7ELi8ELi9ELi10EEEElEENS_31BlockToCTileMap_M00_N00_M01_N01ILi128ELi128ES12_Lb0EEELb0ELb1EEEvPKT0_S24_PT1_T2_T3_T4_T5_.num_named_barrier, 0
	.set _ZN2ck19kernel_gemm_dl_v1r3INS_28GridwiseGemmDl_km_kn_mn_v1r3ILi256EDF16_fDF16_LNS_25InMemoryDataOperationEnumE0ENS_16TensorDescriptorINS_5TupleIJNS_5EmbedINS4_IJiiEEENS4_IJNS_17integral_constantIiLi1EEEiEEELb0EEENS_7UnMergeINS4_IJiNS7_IiLi2EEEEEELb0EEENS_11PassThroughIiEEEEENS4_IJNS_8SequenceIJLi0EEEENSI_IJLi2EEEENSI_IJLi1EEEEEEENS4_IJNSI_IJLi1ELi2EEEENSI_IJLi3ELi4EEEENSI_IJLi5EEEEEEENSI_IJLi3ELi5ELi4EEEElEENS3_INS4_IJNS5_IS6_NS4_IJiS8_EEELb0EEESE_SG_EEENS4_IJSJ_SL_SK_EEESQ_SR_lEENS3_INS4_IJSU_SG_SG_EEESW_NS4_IJSN_NSI_IJLi3EEEENSI_IJLi4EEEEEEESO_lEELi128ELi128ELi16ELi2ELi4ELi4ELi1ENSI_IJLi8ELi2EEEES13_NSI_IJLi2ELi1ELi4ELi2EEEENSI_IJLi8ELi1ELi32ELi1EEEENSI_IJLi0ELi3ELi1ELi2EEEES16_NSI_IJLi1ELi1ELi4ELi1EEEES16_NSI_IJLi1ELi1ELi4ELi2EEEES14_S15_S16_S16_S17_S16_S18_NSI_IJLi0ELi1ELi2ELi3ELi4ELi5EEEELi5ELi4EEEDF16_DF16_NS3_INS4_IJSA_SE_SG_SG_NSB_INS4_IJiNS7_IiLi128EEEEEELb0EEENSF_ISC_EEEEENS4_IJSJ_SK_SL_SZ_SP_S10_EEENS4_IJSN_SO_SP_NSI_IJLi6EEEENSI_IJLi7ELi8EEEENSI_IJLi9EEEEEEENSI_IJLi6ELi7ELi8ELi9EEEElEENS3_INS4_IJSU_SE_SG_SG_S1D_S1E_EEENS4_IJSJ_SL_SK_SZ_SP_S10_EEES1K_S1L_lEENS3_INS4_IJSU_SG_SG_NSB_INS4_IJiSC_NS7_IiLi64EEEEEELb0EEES1S_EEENS4_IJSJ_SL_SK_SZ_S10_EEENS4_IJSN_SZ_S10_NSI_IJLi5ELi6ELi7EEEENSI_IJLi8ELi9ELi10EEEEEEENSI_IJLi5ELi6ELi7ELi8ELi9ELi10EEEElEENS_31BlockToCTileMap_M00_N00_M01_N01ILi128ELi128ES12_Lb0EEELb0ELb1EEEvPKT0_S24_PT1_T2_T3_T4_T5_.private_seg_size, 0
	.set _ZN2ck19kernel_gemm_dl_v1r3INS_28GridwiseGemmDl_km_kn_mn_v1r3ILi256EDF16_fDF16_LNS_25InMemoryDataOperationEnumE0ENS_16TensorDescriptorINS_5TupleIJNS_5EmbedINS4_IJiiEEENS4_IJNS_17integral_constantIiLi1EEEiEEELb0EEENS_7UnMergeINS4_IJiNS7_IiLi2EEEEEELb0EEENS_11PassThroughIiEEEEENS4_IJNS_8SequenceIJLi0EEEENSI_IJLi2EEEENSI_IJLi1EEEEEEENS4_IJNSI_IJLi1ELi2EEEENSI_IJLi3ELi4EEEENSI_IJLi5EEEEEEENSI_IJLi3ELi5ELi4EEEElEENS3_INS4_IJNS5_IS6_NS4_IJiS8_EEELb0EEESE_SG_EEENS4_IJSJ_SL_SK_EEESQ_SR_lEENS3_INS4_IJSU_SG_SG_EEESW_NS4_IJSN_NSI_IJLi3EEEENSI_IJLi4EEEEEEESO_lEELi128ELi128ELi16ELi2ELi4ELi4ELi1ENSI_IJLi8ELi2EEEES13_NSI_IJLi2ELi1ELi4ELi2EEEENSI_IJLi8ELi1ELi32ELi1EEEENSI_IJLi0ELi3ELi1ELi2EEEES16_NSI_IJLi1ELi1ELi4ELi1EEEES16_NSI_IJLi1ELi1ELi4ELi2EEEES14_S15_S16_S16_S17_S16_S18_NSI_IJLi0ELi1ELi2ELi3ELi4ELi5EEEELi5ELi4EEEDF16_DF16_NS3_INS4_IJSA_SE_SG_SG_NSB_INS4_IJiNS7_IiLi128EEEEEELb0EEENSF_ISC_EEEEENS4_IJSJ_SK_SL_SZ_SP_S10_EEENS4_IJSN_SO_SP_NSI_IJLi6EEEENSI_IJLi7ELi8EEEENSI_IJLi9EEEEEEENSI_IJLi6ELi7ELi8ELi9EEEElEENS3_INS4_IJSU_SE_SG_SG_S1D_S1E_EEENS4_IJSJ_SL_SK_SZ_SP_S10_EEES1K_S1L_lEENS3_INS4_IJSU_SG_SG_NSB_INS4_IJiSC_NS7_IiLi64EEEEEELb0EEES1S_EEENS4_IJSJ_SL_SK_SZ_S10_EEENS4_IJSN_SZ_S10_NSI_IJLi5ELi6ELi7EEEENSI_IJLi8ELi9ELi10EEEEEEENSI_IJLi5ELi6ELi7ELi8ELi9ELi10EEEElEENS_31BlockToCTileMap_M00_N00_M01_N01ILi128ELi128ES12_Lb0EEELb0ELb1EEEvPKT0_S24_PT1_T2_T3_T4_T5_.uses_vcc, 0
	.set _ZN2ck19kernel_gemm_dl_v1r3INS_28GridwiseGemmDl_km_kn_mn_v1r3ILi256EDF16_fDF16_LNS_25InMemoryDataOperationEnumE0ENS_16TensorDescriptorINS_5TupleIJNS_5EmbedINS4_IJiiEEENS4_IJNS_17integral_constantIiLi1EEEiEEELb0EEENS_7UnMergeINS4_IJiNS7_IiLi2EEEEEELb0EEENS_11PassThroughIiEEEEENS4_IJNS_8SequenceIJLi0EEEENSI_IJLi2EEEENSI_IJLi1EEEEEEENS4_IJNSI_IJLi1ELi2EEEENSI_IJLi3ELi4EEEENSI_IJLi5EEEEEEENSI_IJLi3ELi5ELi4EEEElEENS3_INS4_IJNS5_IS6_NS4_IJiS8_EEELb0EEESE_SG_EEENS4_IJSJ_SL_SK_EEESQ_SR_lEENS3_INS4_IJSU_SG_SG_EEESW_NS4_IJSN_NSI_IJLi3EEEENSI_IJLi4EEEEEEESO_lEELi128ELi128ELi16ELi2ELi4ELi4ELi1ENSI_IJLi8ELi2EEEES13_NSI_IJLi2ELi1ELi4ELi2EEEENSI_IJLi8ELi1ELi32ELi1EEEENSI_IJLi0ELi3ELi1ELi2EEEES16_NSI_IJLi1ELi1ELi4ELi1EEEES16_NSI_IJLi1ELi1ELi4ELi2EEEES14_S15_S16_S16_S17_S16_S18_NSI_IJLi0ELi1ELi2ELi3ELi4ELi5EEEELi5ELi4EEEDF16_DF16_NS3_INS4_IJSA_SE_SG_SG_NSB_INS4_IJiNS7_IiLi128EEEEEELb0EEENSF_ISC_EEEEENS4_IJSJ_SK_SL_SZ_SP_S10_EEENS4_IJSN_SO_SP_NSI_IJLi6EEEENSI_IJLi7ELi8EEEENSI_IJLi9EEEEEEENSI_IJLi6ELi7ELi8ELi9EEEElEENS3_INS4_IJSU_SE_SG_SG_S1D_S1E_EEENS4_IJSJ_SL_SK_SZ_SP_S10_EEES1K_S1L_lEENS3_INS4_IJSU_SG_SG_NSB_INS4_IJiSC_NS7_IiLi64EEEEEELb0EEES1S_EEENS4_IJSJ_SL_SK_SZ_S10_EEENS4_IJSN_SZ_S10_NSI_IJLi5ELi6ELi7EEEENSI_IJLi8ELi9ELi10EEEEEEENSI_IJLi5ELi6ELi7ELi8ELi9ELi10EEEElEENS_31BlockToCTileMap_M00_N00_M01_N01ILi128ELi128ES12_Lb0EEELb0ELb1EEEvPKT0_S24_PT1_T2_T3_T4_T5_.uses_flat_scratch, 0
	.set _ZN2ck19kernel_gemm_dl_v1r3INS_28GridwiseGemmDl_km_kn_mn_v1r3ILi256EDF16_fDF16_LNS_25InMemoryDataOperationEnumE0ENS_16TensorDescriptorINS_5TupleIJNS_5EmbedINS4_IJiiEEENS4_IJNS_17integral_constantIiLi1EEEiEEELb0EEENS_7UnMergeINS4_IJiNS7_IiLi2EEEEEELb0EEENS_11PassThroughIiEEEEENS4_IJNS_8SequenceIJLi0EEEENSI_IJLi2EEEENSI_IJLi1EEEEEEENS4_IJNSI_IJLi1ELi2EEEENSI_IJLi3ELi4EEEENSI_IJLi5EEEEEEENSI_IJLi3ELi5ELi4EEEElEENS3_INS4_IJNS5_IS6_NS4_IJiS8_EEELb0EEESE_SG_EEENS4_IJSJ_SL_SK_EEESQ_SR_lEENS3_INS4_IJSU_SG_SG_EEESW_NS4_IJSN_NSI_IJLi3EEEENSI_IJLi4EEEEEEESO_lEELi128ELi128ELi16ELi2ELi4ELi4ELi1ENSI_IJLi8ELi2EEEES13_NSI_IJLi2ELi1ELi4ELi2EEEENSI_IJLi8ELi1ELi32ELi1EEEENSI_IJLi0ELi3ELi1ELi2EEEES16_NSI_IJLi1ELi1ELi4ELi1EEEES16_NSI_IJLi1ELi1ELi4ELi2EEEES14_S15_S16_S16_S17_S16_S18_NSI_IJLi0ELi1ELi2ELi3ELi4ELi5EEEELi5ELi4EEEDF16_DF16_NS3_INS4_IJSA_SE_SG_SG_NSB_INS4_IJiNS7_IiLi128EEEEEELb0EEENSF_ISC_EEEEENS4_IJSJ_SK_SL_SZ_SP_S10_EEENS4_IJSN_SO_SP_NSI_IJLi6EEEENSI_IJLi7ELi8EEEENSI_IJLi9EEEEEEENSI_IJLi6ELi7ELi8ELi9EEEElEENS3_INS4_IJSU_SE_SG_SG_S1D_S1E_EEENS4_IJSJ_SL_SK_SZ_SP_S10_EEES1K_S1L_lEENS3_INS4_IJSU_SG_SG_NSB_INS4_IJiSC_NS7_IiLi64EEEEEELb0EEES1S_EEENS4_IJSJ_SL_SK_SZ_S10_EEENS4_IJSN_SZ_S10_NSI_IJLi5ELi6ELi7EEEENSI_IJLi8ELi9ELi10EEEEEEENSI_IJLi5ELi6ELi7ELi8ELi9ELi10EEEElEENS_31BlockToCTileMap_M00_N00_M01_N01ILi128ELi128ES12_Lb0EEELb0ELb1EEEvPKT0_S24_PT1_T2_T3_T4_T5_.has_dyn_sized_stack, 0
	.set _ZN2ck19kernel_gemm_dl_v1r3INS_28GridwiseGemmDl_km_kn_mn_v1r3ILi256EDF16_fDF16_LNS_25InMemoryDataOperationEnumE0ENS_16TensorDescriptorINS_5TupleIJNS_5EmbedINS4_IJiiEEENS4_IJNS_17integral_constantIiLi1EEEiEEELb0EEENS_7UnMergeINS4_IJiNS7_IiLi2EEEEEELb0EEENS_11PassThroughIiEEEEENS4_IJNS_8SequenceIJLi0EEEENSI_IJLi2EEEENSI_IJLi1EEEEEEENS4_IJNSI_IJLi1ELi2EEEENSI_IJLi3ELi4EEEENSI_IJLi5EEEEEEENSI_IJLi3ELi5ELi4EEEElEENS3_INS4_IJNS5_IS6_NS4_IJiS8_EEELb0EEESE_SG_EEENS4_IJSJ_SL_SK_EEESQ_SR_lEENS3_INS4_IJSU_SG_SG_EEESW_NS4_IJSN_NSI_IJLi3EEEENSI_IJLi4EEEEEEESO_lEELi128ELi128ELi16ELi2ELi4ELi4ELi1ENSI_IJLi8ELi2EEEES13_NSI_IJLi2ELi1ELi4ELi2EEEENSI_IJLi8ELi1ELi32ELi1EEEENSI_IJLi0ELi3ELi1ELi2EEEES16_NSI_IJLi1ELi1ELi4ELi1EEEES16_NSI_IJLi1ELi1ELi4ELi2EEEES14_S15_S16_S16_S17_S16_S18_NSI_IJLi0ELi1ELi2ELi3ELi4ELi5EEEELi5ELi4EEEDF16_DF16_NS3_INS4_IJSA_SE_SG_SG_NSB_INS4_IJiNS7_IiLi128EEEEEELb0EEENSF_ISC_EEEEENS4_IJSJ_SK_SL_SZ_SP_S10_EEENS4_IJSN_SO_SP_NSI_IJLi6EEEENSI_IJLi7ELi8EEEENSI_IJLi9EEEEEEENSI_IJLi6ELi7ELi8ELi9EEEElEENS3_INS4_IJSU_SE_SG_SG_S1D_S1E_EEENS4_IJSJ_SL_SK_SZ_SP_S10_EEES1K_S1L_lEENS3_INS4_IJSU_SG_SG_NSB_INS4_IJiSC_NS7_IiLi64EEEEEELb0EEES1S_EEENS4_IJSJ_SL_SK_SZ_S10_EEENS4_IJSN_SZ_S10_NSI_IJLi5ELi6ELi7EEEENSI_IJLi8ELi9ELi10EEEEEEENSI_IJLi5ELi6ELi7ELi8ELi9ELi10EEEElEENS_31BlockToCTileMap_M00_N00_M01_N01ILi128ELi128ES12_Lb0EEELb0ELb1EEEvPKT0_S24_PT1_T2_T3_T4_T5_.has_recursion, 0
	.set _ZN2ck19kernel_gemm_dl_v1r3INS_28GridwiseGemmDl_km_kn_mn_v1r3ILi256EDF16_fDF16_LNS_25InMemoryDataOperationEnumE0ENS_16TensorDescriptorINS_5TupleIJNS_5EmbedINS4_IJiiEEENS4_IJNS_17integral_constantIiLi1EEEiEEELb0EEENS_7UnMergeINS4_IJiNS7_IiLi2EEEEEELb0EEENS_11PassThroughIiEEEEENS4_IJNS_8SequenceIJLi0EEEENSI_IJLi2EEEENSI_IJLi1EEEEEEENS4_IJNSI_IJLi1ELi2EEEENSI_IJLi3ELi4EEEENSI_IJLi5EEEEEEENSI_IJLi3ELi5ELi4EEEElEENS3_INS4_IJNS5_IS6_NS4_IJiS8_EEELb0EEESE_SG_EEENS4_IJSJ_SL_SK_EEESQ_SR_lEENS3_INS4_IJSU_SG_SG_EEESW_NS4_IJSN_NSI_IJLi3EEEENSI_IJLi4EEEEEEESO_lEELi128ELi128ELi16ELi2ELi4ELi4ELi1ENSI_IJLi8ELi2EEEES13_NSI_IJLi2ELi1ELi4ELi2EEEENSI_IJLi8ELi1ELi32ELi1EEEENSI_IJLi0ELi3ELi1ELi2EEEES16_NSI_IJLi1ELi1ELi4ELi1EEEES16_NSI_IJLi1ELi1ELi4ELi2EEEES14_S15_S16_S16_S17_S16_S18_NSI_IJLi0ELi1ELi2ELi3ELi4ELi5EEEELi5ELi4EEEDF16_DF16_NS3_INS4_IJSA_SE_SG_SG_NSB_INS4_IJiNS7_IiLi128EEEEEELb0EEENSF_ISC_EEEEENS4_IJSJ_SK_SL_SZ_SP_S10_EEENS4_IJSN_SO_SP_NSI_IJLi6EEEENSI_IJLi7ELi8EEEENSI_IJLi9EEEEEEENSI_IJLi6ELi7ELi8ELi9EEEElEENS3_INS4_IJSU_SE_SG_SG_S1D_S1E_EEENS4_IJSJ_SL_SK_SZ_SP_S10_EEES1K_S1L_lEENS3_INS4_IJSU_SG_SG_NSB_INS4_IJiSC_NS7_IiLi64EEEEEELb0EEES1S_EEENS4_IJSJ_SL_SK_SZ_S10_EEENS4_IJSN_SZ_S10_NSI_IJLi5ELi6ELi7EEEENSI_IJLi8ELi9ELi10EEEEEEENSI_IJLi5ELi6ELi7ELi8ELi9ELi10EEEElEENS_31BlockToCTileMap_M00_N00_M01_N01ILi128ELi128ES12_Lb0EEELb0ELb1EEEvPKT0_S24_PT1_T2_T3_T4_T5_.has_indirect_call, 0
	.section	.AMDGPU.csdata,"",@progbits
; Kernel info:
; codeLenInByte = 11428
; TotalNumSgprs: 30
; NumVgprs: 104
; NumAgprs: 0
; TotalNumVgprs: 104
; ScratchSize: 0
; MemoryBound: 0
; FloatMode: 240
; IeeeMode: 1
; LDSByteSize: 32768 bytes/workgroup (compile time only)
; SGPRBlocks: 12
; VGPRBlocks: 12
; NumSGPRsForWavesPerEU: 102
; NumVGPRsForWavesPerEU: 104
; AccumOffset: 104
; Occupancy: 4
; WaveLimiterHint : 0
; COMPUTE_PGM_RSRC2:SCRATCH_EN: 0
; COMPUTE_PGM_RSRC2:USER_SGPR: 2
; COMPUTE_PGM_RSRC2:TRAP_HANDLER: 0
; COMPUTE_PGM_RSRC2:TGID_X_EN: 1
; COMPUTE_PGM_RSRC2:TGID_Y_EN: 0
; COMPUTE_PGM_RSRC2:TGID_Z_EN: 0
; COMPUTE_PGM_RSRC2:TIDIG_COMP_CNT: 0
; COMPUTE_PGM_RSRC3_GFX90A:ACCUM_OFFSET: 25
; COMPUTE_PGM_RSRC3_GFX90A:TG_SPLIT: 0
	.section	.text._ZN2ck19kernel_gemm_dl_v1r3INS_28GridwiseGemmDl_km_kn_mn_v1r3ILi256EDF16_fDF16_LNS_25InMemoryDataOperationEnumE0ENS_16TensorDescriptorINS_5TupleIJNS_5EmbedINS4_IJiiEEENS4_IJNS_17integral_constantIiLi1EEEiEEELb0EEENS_7UnMergeINS4_IJiNS7_IiLi2EEEEEELb0EEENS_11PassThroughIiEEEEENS4_IJNS_8SequenceIJLi0EEEENSI_IJLi2EEEENSI_IJLi1EEEEEEENS4_IJNSI_IJLi1ELi2EEEENSI_IJLi3ELi4EEEENSI_IJLi5EEEEEEENSI_IJLi3ELi5ELi4EEEElEENS3_INS4_IJNS5_IS6_NS4_IJiS8_EEELb0EEESE_SG_EEENS4_IJSJ_SL_SK_EEESQ_SR_lEENS3_INS4_IJSU_SG_SG_EEESW_NS4_IJSN_NSI_IJLi3EEEENSI_IJLi4EEEEEEESO_lEELi128ELi128ELi16ELi2ELi4ELi4ELi1ENSI_IJLi8ELi2EEEES13_NSI_IJLi2ELi1ELi4ELi2EEEENSI_IJLi8ELi1ELi32ELi1EEEENSI_IJLi0ELi3ELi1ELi2EEEES16_NSI_IJLi1ELi1ELi4ELi1EEEES16_NSI_IJLi1ELi1ELi4ELi2EEEES14_S15_S16_S16_S17_S16_S18_NSI_IJLi0ELi1ELi2ELi3ELi4ELi5EEEELi5ELi4EEEDF16_DF16_NS3_INS4_IJSA_SE_SG_SG_NSB_INS4_IJiNS7_IiLi128EEEEEELb0EEENSF_ISC_EEEEENS4_IJSJ_SK_SL_SZ_SP_S10_EEENS4_IJSN_SO_SP_NSI_IJLi6EEEENSI_IJLi7ELi8EEEENSI_IJLi9EEEEEEENSI_IJLi6ELi7ELi8ELi9EEEElEENS3_INS4_IJSU_SE_SG_SG_S1D_S1E_EEENS4_IJSJ_SL_SK_SZ_SP_S10_EEES1K_S1L_lEENS3_INS4_IJSU_SG_SG_NSB_INS4_IJiSC_NS7_IiLi64EEEEEELb0EEES1S_EEENS4_IJSJ_SL_SK_SZ_S10_EEENS4_IJSN_SZ_S10_NSI_IJLi5ELi6ELi7EEEENSI_IJLi8ELi9ELi10EEEEEEENSI_IJLi5ELi6ELi7ELi8ELi9ELi10EEEElEENS_31BlockToCTileMap_M00_N00_M01_N01ILi128ELi128ES12_Lb0EEELb0ELb0EEEvPKT0_S24_PT1_T2_T3_T4_T5_,"axG",@progbits,_ZN2ck19kernel_gemm_dl_v1r3INS_28GridwiseGemmDl_km_kn_mn_v1r3ILi256EDF16_fDF16_LNS_25InMemoryDataOperationEnumE0ENS_16TensorDescriptorINS_5TupleIJNS_5EmbedINS4_IJiiEEENS4_IJNS_17integral_constantIiLi1EEEiEEELb0EEENS_7UnMergeINS4_IJiNS7_IiLi2EEEEEELb0EEENS_11PassThroughIiEEEEENS4_IJNS_8SequenceIJLi0EEEENSI_IJLi2EEEENSI_IJLi1EEEEEEENS4_IJNSI_IJLi1ELi2EEEENSI_IJLi3ELi4EEEENSI_IJLi5EEEEEEENSI_IJLi3ELi5ELi4EEEElEENS3_INS4_IJNS5_IS6_NS4_IJiS8_EEELb0EEESE_SG_EEENS4_IJSJ_SL_SK_EEESQ_SR_lEENS3_INS4_IJSU_SG_SG_EEESW_NS4_IJSN_NSI_IJLi3EEEENSI_IJLi4EEEEEEESO_lEELi128ELi128ELi16ELi2ELi4ELi4ELi1ENSI_IJLi8ELi2EEEES13_NSI_IJLi2ELi1ELi4ELi2EEEENSI_IJLi8ELi1ELi32ELi1EEEENSI_IJLi0ELi3ELi1ELi2EEEES16_NSI_IJLi1ELi1ELi4ELi1EEEES16_NSI_IJLi1ELi1ELi4ELi2EEEES14_S15_S16_S16_S17_S16_S18_NSI_IJLi0ELi1ELi2ELi3ELi4ELi5EEEELi5ELi4EEEDF16_DF16_NS3_INS4_IJSA_SE_SG_SG_NSB_INS4_IJiNS7_IiLi128EEEEEELb0EEENSF_ISC_EEEEENS4_IJSJ_SK_SL_SZ_SP_S10_EEENS4_IJSN_SO_SP_NSI_IJLi6EEEENSI_IJLi7ELi8EEEENSI_IJLi9EEEEEEENSI_IJLi6ELi7ELi8ELi9EEEElEENS3_INS4_IJSU_SE_SG_SG_S1D_S1E_EEENS4_IJSJ_SL_SK_SZ_SP_S10_EEES1K_S1L_lEENS3_INS4_IJSU_SG_SG_NSB_INS4_IJiSC_NS7_IiLi64EEEEEELb0EEES1S_EEENS4_IJSJ_SL_SK_SZ_S10_EEENS4_IJSN_SZ_S10_NSI_IJLi5ELi6ELi7EEEENSI_IJLi8ELi9ELi10EEEEEEENSI_IJLi5ELi6ELi7ELi8ELi9ELi10EEEElEENS_31BlockToCTileMap_M00_N00_M01_N01ILi128ELi128ES12_Lb0EEELb0ELb0EEEvPKT0_S24_PT1_T2_T3_T4_T5_,comdat
	.protected	_ZN2ck19kernel_gemm_dl_v1r3INS_28GridwiseGemmDl_km_kn_mn_v1r3ILi256EDF16_fDF16_LNS_25InMemoryDataOperationEnumE0ENS_16TensorDescriptorINS_5TupleIJNS_5EmbedINS4_IJiiEEENS4_IJNS_17integral_constantIiLi1EEEiEEELb0EEENS_7UnMergeINS4_IJiNS7_IiLi2EEEEEELb0EEENS_11PassThroughIiEEEEENS4_IJNS_8SequenceIJLi0EEEENSI_IJLi2EEEENSI_IJLi1EEEEEEENS4_IJNSI_IJLi1ELi2EEEENSI_IJLi3ELi4EEEENSI_IJLi5EEEEEEENSI_IJLi3ELi5ELi4EEEElEENS3_INS4_IJNS5_IS6_NS4_IJiS8_EEELb0EEESE_SG_EEENS4_IJSJ_SL_SK_EEESQ_SR_lEENS3_INS4_IJSU_SG_SG_EEESW_NS4_IJSN_NSI_IJLi3EEEENSI_IJLi4EEEEEEESO_lEELi128ELi128ELi16ELi2ELi4ELi4ELi1ENSI_IJLi8ELi2EEEES13_NSI_IJLi2ELi1ELi4ELi2EEEENSI_IJLi8ELi1ELi32ELi1EEEENSI_IJLi0ELi3ELi1ELi2EEEES16_NSI_IJLi1ELi1ELi4ELi1EEEES16_NSI_IJLi1ELi1ELi4ELi2EEEES14_S15_S16_S16_S17_S16_S18_NSI_IJLi0ELi1ELi2ELi3ELi4ELi5EEEELi5ELi4EEEDF16_DF16_NS3_INS4_IJSA_SE_SG_SG_NSB_INS4_IJiNS7_IiLi128EEEEEELb0EEENSF_ISC_EEEEENS4_IJSJ_SK_SL_SZ_SP_S10_EEENS4_IJSN_SO_SP_NSI_IJLi6EEEENSI_IJLi7ELi8EEEENSI_IJLi9EEEEEEENSI_IJLi6ELi7ELi8ELi9EEEElEENS3_INS4_IJSU_SE_SG_SG_S1D_S1E_EEENS4_IJSJ_SL_SK_SZ_SP_S10_EEES1K_S1L_lEENS3_INS4_IJSU_SG_SG_NSB_INS4_IJiSC_NS7_IiLi64EEEEEELb0EEES1S_EEENS4_IJSJ_SL_SK_SZ_S10_EEENS4_IJSN_SZ_S10_NSI_IJLi5ELi6ELi7EEEENSI_IJLi8ELi9ELi10EEEEEEENSI_IJLi5ELi6ELi7ELi8ELi9ELi10EEEElEENS_31BlockToCTileMap_M00_N00_M01_N01ILi128ELi128ES12_Lb0EEELb0ELb0EEEvPKT0_S24_PT1_T2_T3_T4_T5_ ; -- Begin function _ZN2ck19kernel_gemm_dl_v1r3INS_28GridwiseGemmDl_km_kn_mn_v1r3ILi256EDF16_fDF16_LNS_25InMemoryDataOperationEnumE0ENS_16TensorDescriptorINS_5TupleIJNS_5EmbedINS4_IJiiEEENS4_IJNS_17integral_constantIiLi1EEEiEEELb0EEENS_7UnMergeINS4_IJiNS7_IiLi2EEEEEELb0EEENS_11PassThroughIiEEEEENS4_IJNS_8SequenceIJLi0EEEENSI_IJLi2EEEENSI_IJLi1EEEEEEENS4_IJNSI_IJLi1ELi2EEEENSI_IJLi3ELi4EEEENSI_IJLi5EEEEEEENSI_IJLi3ELi5ELi4EEEElEENS3_INS4_IJNS5_IS6_NS4_IJiS8_EEELb0EEESE_SG_EEENS4_IJSJ_SL_SK_EEESQ_SR_lEENS3_INS4_IJSU_SG_SG_EEESW_NS4_IJSN_NSI_IJLi3EEEENSI_IJLi4EEEEEEESO_lEELi128ELi128ELi16ELi2ELi4ELi4ELi1ENSI_IJLi8ELi2EEEES13_NSI_IJLi2ELi1ELi4ELi2EEEENSI_IJLi8ELi1ELi32ELi1EEEENSI_IJLi0ELi3ELi1ELi2EEEES16_NSI_IJLi1ELi1ELi4ELi1EEEES16_NSI_IJLi1ELi1ELi4ELi2EEEES14_S15_S16_S16_S17_S16_S18_NSI_IJLi0ELi1ELi2ELi3ELi4ELi5EEEELi5ELi4EEEDF16_DF16_NS3_INS4_IJSA_SE_SG_SG_NSB_INS4_IJiNS7_IiLi128EEEEEELb0EEENSF_ISC_EEEEENS4_IJSJ_SK_SL_SZ_SP_S10_EEENS4_IJSN_SO_SP_NSI_IJLi6EEEENSI_IJLi7ELi8EEEENSI_IJLi9EEEEEEENSI_IJLi6ELi7ELi8ELi9EEEElEENS3_INS4_IJSU_SE_SG_SG_S1D_S1E_EEENS4_IJSJ_SL_SK_SZ_SP_S10_EEES1K_S1L_lEENS3_INS4_IJSU_SG_SG_NSB_INS4_IJiSC_NS7_IiLi64EEEEEELb0EEES1S_EEENS4_IJSJ_SL_SK_SZ_S10_EEENS4_IJSN_SZ_S10_NSI_IJLi5ELi6ELi7EEEENSI_IJLi8ELi9ELi10EEEEEEENSI_IJLi5ELi6ELi7ELi8ELi9ELi10EEEElEENS_31BlockToCTileMap_M00_N00_M01_N01ILi128ELi128ES12_Lb0EEELb0ELb0EEEvPKT0_S24_PT1_T2_T3_T4_T5_
	.globl	_ZN2ck19kernel_gemm_dl_v1r3INS_28GridwiseGemmDl_km_kn_mn_v1r3ILi256EDF16_fDF16_LNS_25InMemoryDataOperationEnumE0ENS_16TensorDescriptorINS_5TupleIJNS_5EmbedINS4_IJiiEEENS4_IJNS_17integral_constantIiLi1EEEiEEELb0EEENS_7UnMergeINS4_IJiNS7_IiLi2EEEEEELb0EEENS_11PassThroughIiEEEEENS4_IJNS_8SequenceIJLi0EEEENSI_IJLi2EEEENSI_IJLi1EEEEEEENS4_IJNSI_IJLi1ELi2EEEENSI_IJLi3ELi4EEEENSI_IJLi5EEEEEEENSI_IJLi3ELi5ELi4EEEElEENS3_INS4_IJNS5_IS6_NS4_IJiS8_EEELb0EEESE_SG_EEENS4_IJSJ_SL_SK_EEESQ_SR_lEENS3_INS4_IJSU_SG_SG_EEESW_NS4_IJSN_NSI_IJLi3EEEENSI_IJLi4EEEEEEESO_lEELi128ELi128ELi16ELi2ELi4ELi4ELi1ENSI_IJLi8ELi2EEEES13_NSI_IJLi2ELi1ELi4ELi2EEEENSI_IJLi8ELi1ELi32ELi1EEEENSI_IJLi0ELi3ELi1ELi2EEEES16_NSI_IJLi1ELi1ELi4ELi1EEEES16_NSI_IJLi1ELi1ELi4ELi2EEEES14_S15_S16_S16_S17_S16_S18_NSI_IJLi0ELi1ELi2ELi3ELi4ELi5EEEELi5ELi4EEEDF16_DF16_NS3_INS4_IJSA_SE_SG_SG_NSB_INS4_IJiNS7_IiLi128EEEEEELb0EEENSF_ISC_EEEEENS4_IJSJ_SK_SL_SZ_SP_S10_EEENS4_IJSN_SO_SP_NSI_IJLi6EEEENSI_IJLi7ELi8EEEENSI_IJLi9EEEEEEENSI_IJLi6ELi7ELi8ELi9EEEElEENS3_INS4_IJSU_SE_SG_SG_S1D_S1E_EEENS4_IJSJ_SL_SK_SZ_SP_S10_EEES1K_S1L_lEENS3_INS4_IJSU_SG_SG_NSB_INS4_IJiSC_NS7_IiLi64EEEEEELb0EEES1S_EEENS4_IJSJ_SL_SK_SZ_S10_EEENS4_IJSN_SZ_S10_NSI_IJLi5ELi6ELi7EEEENSI_IJLi8ELi9ELi10EEEEEEENSI_IJLi5ELi6ELi7ELi8ELi9ELi10EEEElEENS_31BlockToCTileMap_M00_N00_M01_N01ILi128ELi128ES12_Lb0EEELb0ELb0EEEvPKT0_S24_PT1_T2_T3_T4_T5_
	.p2align	8
	.type	_ZN2ck19kernel_gemm_dl_v1r3INS_28GridwiseGemmDl_km_kn_mn_v1r3ILi256EDF16_fDF16_LNS_25InMemoryDataOperationEnumE0ENS_16TensorDescriptorINS_5TupleIJNS_5EmbedINS4_IJiiEEENS4_IJNS_17integral_constantIiLi1EEEiEEELb0EEENS_7UnMergeINS4_IJiNS7_IiLi2EEEEEELb0EEENS_11PassThroughIiEEEEENS4_IJNS_8SequenceIJLi0EEEENSI_IJLi2EEEENSI_IJLi1EEEEEEENS4_IJNSI_IJLi1ELi2EEEENSI_IJLi3ELi4EEEENSI_IJLi5EEEEEEENSI_IJLi3ELi5ELi4EEEElEENS3_INS4_IJNS5_IS6_NS4_IJiS8_EEELb0EEESE_SG_EEENS4_IJSJ_SL_SK_EEESQ_SR_lEENS3_INS4_IJSU_SG_SG_EEESW_NS4_IJSN_NSI_IJLi3EEEENSI_IJLi4EEEEEEESO_lEELi128ELi128ELi16ELi2ELi4ELi4ELi1ENSI_IJLi8ELi2EEEES13_NSI_IJLi2ELi1ELi4ELi2EEEENSI_IJLi8ELi1ELi32ELi1EEEENSI_IJLi0ELi3ELi1ELi2EEEES16_NSI_IJLi1ELi1ELi4ELi1EEEES16_NSI_IJLi1ELi1ELi4ELi2EEEES14_S15_S16_S16_S17_S16_S18_NSI_IJLi0ELi1ELi2ELi3ELi4ELi5EEEELi5ELi4EEEDF16_DF16_NS3_INS4_IJSA_SE_SG_SG_NSB_INS4_IJiNS7_IiLi128EEEEEELb0EEENSF_ISC_EEEEENS4_IJSJ_SK_SL_SZ_SP_S10_EEENS4_IJSN_SO_SP_NSI_IJLi6EEEENSI_IJLi7ELi8EEEENSI_IJLi9EEEEEEENSI_IJLi6ELi7ELi8ELi9EEEElEENS3_INS4_IJSU_SE_SG_SG_S1D_S1E_EEENS4_IJSJ_SL_SK_SZ_SP_S10_EEES1K_S1L_lEENS3_INS4_IJSU_SG_SG_NSB_INS4_IJiSC_NS7_IiLi64EEEEEELb0EEES1S_EEENS4_IJSJ_SL_SK_SZ_S10_EEENS4_IJSN_SZ_S10_NSI_IJLi5ELi6ELi7EEEENSI_IJLi8ELi9ELi10EEEEEEENSI_IJLi5ELi6ELi7ELi8ELi9ELi10EEEElEENS_31BlockToCTileMap_M00_N00_M01_N01ILi128ELi128ES12_Lb0EEELb0ELb0EEEvPKT0_S24_PT1_T2_T3_T4_T5_,@function
_ZN2ck19kernel_gemm_dl_v1r3INS_28GridwiseGemmDl_km_kn_mn_v1r3ILi256EDF16_fDF16_LNS_25InMemoryDataOperationEnumE0ENS_16TensorDescriptorINS_5TupleIJNS_5EmbedINS4_IJiiEEENS4_IJNS_17integral_constantIiLi1EEEiEEELb0EEENS_7UnMergeINS4_IJiNS7_IiLi2EEEEEELb0EEENS_11PassThroughIiEEEEENS4_IJNS_8SequenceIJLi0EEEENSI_IJLi2EEEENSI_IJLi1EEEEEEENS4_IJNSI_IJLi1ELi2EEEENSI_IJLi3ELi4EEEENSI_IJLi5EEEEEEENSI_IJLi3ELi5ELi4EEEElEENS3_INS4_IJNS5_IS6_NS4_IJiS8_EEELb0EEESE_SG_EEENS4_IJSJ_SL_SK_EEESQ_SR_lEENS3_INS4_IJSU_SG_SG_EEESW_NS4_IJSN_NSI_IJLi3EEEENSI_IJLi4EEEEEEESO_lEELi128ELi128ELi16ELi2ELi4ELi4ELi1ENSI_IJLi8ELi2EEEES13_NSI_IJLi2ELi1ELi4ELi2EEEENSI_IJLi8ELi1ELi32ELi1EEEENSI_IJLi0ELi3ELi1ELi2EEEES16_NSI_IJLi1ELi1ELi4ELi1EEEES16_NSI_IJLi1ELi1ELi4ELi2EEEES14_S15_S16_S16_S17_S16_S18_NSI_IJLi0ELi1ELi2ELi3ELi4ELi5EEEELi5ELi4EEEDF16_DF16_NS3_INS4_IJSA_SE_SG_SG_NSB_INS4_IJiNS7_IiLi128EEEEEELb0EEENSF_ISC_EEEEENS4_IJSJ_SK_SL_SZ_SP_S10_EEENS4_IJSN_SO_SP_NSI_IJLi6EEEENSI_IJLi7ELi8EEEENSI_IJLi9EEEEEEENSI_IJLi6ELi7ELi8ELi9EEEElEENS3_INS4_IJSU_SE_SG_SG_S1D_S1E_EEENS4_IJSJ_SL_SK_SZ_SP_S10_EEES1K_S1L_lEENS3_INS4_IJSU_SG_SG_NSB_INS4_IJiSC_NS7_IiLi64EEEEEELb0EEES1S_EEENS4_IJSJ_SL_SK_SZ_S10_EEENS4_IJSN_SZ_S10_NSI_IJLi5ELi6ELi7EEEENSI_IJLi8ELi9ELi10EEEEEEENSI_IJLi5ELi6ELi7ELi8ELi9ELi10EEEElEENS_31BlockToCTileMap_M00_N00_M01_N01ILi128ELi128ES12_Lb0EEELb0ELb0EEEvPKT0_S24_PT1_T2_T3_T4_T5_: ; @_ZN2ck19kernel_gemm_dl_v1r3INS_28GridwiseGemmDl_km_kn_mn_v1r3ILi256EDF16_fDF16_LNS_25InMemoryDataOperationEnumE0ENS_16TensorDescriptorINS_5TupleIJNS_5EmbedINS4_IJiiEEENS4_IJNS_17integral_constantIiLi1EEEiEEELb0EEENS_7UnMergeINS4_IJiNS7_IiLi2EEEEEELb0EEENS_11PassThroughIiEEEEENS4_IJNS_8SequenceIJLi0EEEENSI_IJLi2EEEENSI_IJLi1EEEEEEENS4_IJNSI_IJLi1ELi2EEEENSI_IJLi3ELi4EEEENSI_IJLi5EEEEEEENSI_IJLi3ELi5ELi4EEEElEENS3_INS4_IJNS5_IS6_NS4_IJiS8_EEELb0EEESE_SG_EEENS4_IJSJ_SL_SK_EEESQ_SR_lEENS3_INS4_IJSU_SG_SG_EEESW_NS4_IJSN_NSI_IJLi3EEEENSI_IJLi4EEEEEEESO_lEELi128ELi128ELi16ELi2ELi4ELi4ELi1ENSI_IJLi8ELi2EEEES13_NSI_IJLi2ELi1ELi4ELi2EEEENSI_IJLi8ELi1ELi32ELi1EEEENSI_IJLi0ELi3ELi1ELi2EEEES16_NSI_IJLi1ELi1ELi4ELi1EEEES16_NSI_IJLi1ELi1ELi4ELi2EEEES14_S15_S16_S16_S17_S16_S18_NSI_IJLi0ELi1ELi2ELi3ELi4ELi5EEEELi5ELi4EEEDF16_DF16_NS3_INS4_IJSA_SE_SG_SG_NSB_INS4_IJiNS7_IiLi128EEEEEELb0EEENSF_ISC_EEEEENS4_IJSJ_SK_SL_SZ_SP_S10_EEENS4_IJSN_SO_SP_NSI_IJLi6EEEENSI_IJLi7ELi8EEEENSI_IJLi9EEEEEEENSI_IJLi6ELi7ELi8ELi9EEEElEENS3_INS4_IJSU_SE_SG_SG_S1D_S1E_EEENS4_IJSJ_SL_SK_SZ_SP_S10_EEES1K_S1L_lEENS3_INS4_IJSU_SG_SG_NSB_INS4_IJiSC_NS7_IiLi64EEEEEELb0EEES1S_EEENS4_IJSJ_SL_SK_SZ_S10_EEENS4_IJSN_SZ_S10_NSI_IJLi5ELi6ELi7EEEENSI_IJLi8ELi9ELi10EEEEEEENSI_IJLi5ELi6ELi7ELi8ELi9ELi10EEEElEENS_31BlockToCTileMap_M00_N00_M01_N01ILi128ELi128ES12_Lb0EEELb0ELb0EEEvPKT0_S24_PT1_T2_T3_T4_T5_
; %bb.0:
	s_load_dwordx4 s[8:11], s[0:1], 0x0
	s_load_dwordx2 s[4:5], s[0:1], 0x10
	s_load_dwordx8 s[16:23], s[0:1], 0x10c
	s_load_dwordx4 s[24:27], s[0:1], 0x130
	s_load_dword s14, s[0:1], 0x24
	s_load_dword s3, s[0:1], 0x50
	;; [unrolled: 1-line block ×3, first 2 shown]
	s_waitcnt lgkmcnt(0)
	s_mul_hi_u32 s19, s23, s2
	s_add_i32 s19, s2, s19
	s_load_dword s17, s[0:1], 0x90
	s_load_dword s12, s[0:1], 0xa0
	;; [unrolled: 1-line block ×5, first 2 shown]
	s_load_dwordx4 s[28:31], s[0:1], 0x108
	s_lshr_b32 s0, s19, s27
	s_mul_hi_u32 s1, s0, s22
	s_add_i32 s1, s0, s1
	s_lshr_b32 s1, s1, s26
	s_mul_hi_u32 s19, s1, s21
	s_add_i32 s19, s1, s19
	s_lshr_b32 s19, s19, s25
	s_mul_i32 s18, s0, s18
	s_sub_i32 s2, s2, s18
	s_mul_hi_u32 s18, s19, s20
	s_add_i32 s18, s19, s18
	s_lshr_b32 s18, s18, s24
	s_mul_i32 s16, s19, s16
	s_waitcnt lgkmcnt(0)
	s_mul_i32 s18, s18, s28
	s_sub_i32 s16, s1, s16
	s_mul_i32 s1, s1, s30
	s_sub_i32 s18, s19, s18
	v_lshrrev_b32_e32 v1, 4, v0
	s_sub_i32 s0, s0, s1
	s_mul_i32 s18, s18, s7
	v_and_b32_e32 v1, 14, v1
	s_add_i32 s0, s0, s18
	v_lshlrev_b32_e32 v2, 2, v0
	v_lshlrev_b32_e32 v3, 1, v1
	s_mul_i32 s16, s16, s13
	v_and_b32_e32 v6, 0x7c, v2
	s_lshl_b32 s7, s0, 7
	v_mul_lo_u32 v4, s14, v3
	s_add_i32 s2, s2, s16
	v_add3_u32 v4, v4, v6, s7
	s_lshl_b32 s13, s2, 7
	v_mul_lo_u32 v3, s15, v3
	v_add_u32_e32 v5, s14, v4
	v_add3_u32 v3, v3, v6, s13
	s_lshl_b32 s2, s3, 1
	s_and_b32 s1, s9, 0xffff
	s_mov_b32 s3, 0x20000
	s_mov_b32 s0, s8
	v_lshlrev_b32_e32 v7, 1, v4
	v_lshlrev_b32_e32 v8, 1, v5
	s_lshl_b32 s8, s14, 1
	v_add_lshl_u32 v9, v5, s8, 1
	v_add_lshl_u32 v10, s8, v4, 1
	buffer_load_dwordx2 v[4:5], v7, s[0:3], 0 offen
	buffer_load_dwordx2 v[12:13], v8, s[0:3], 0 offen
	;; [unrolled: 1-line block ×4, first 2 shown]
	s_lshl_b32 s2, s17, 1
	s_and_b32 s1, s11, 0xffff
	s_mov_b32 s0, s10
	v_lshlrev_b32_e32 v7, 1, v3
	v_add_u32_e32 v8, s15, v3
	s_lshl_b32 s8, s15, 1
	v_lshlrev_b32_e32 v9, 1, v8
	buffer_load_dwordx2 v[20:21], v7, s[0:3], 0 offen
	buffer_load_dwordx2 v[22:23], v9, s[0:3], 0 offen
	v_add_lshl_u32 v7, v8, s8, 1
	v_add_lshl_u32 v3, s8, v3, 1
	buffer_load_dwordx2 v[24:25], v7, s[0:3], 0 offen
	buffer_load_dwordx2 v[26:27], v3, s[0:3], 0 offen
	v_lshrrev_b32_e32 v3, 5, v0
	v_lshlrev_b32_e32 v0, 1, v0
	v_lshlrev_b32_e32 v7, 6, v3
	v_and_b32_e32 v8, 0x1f8, v0
	v_lshlrev_b32_e32 v3, 3, v3
	s_mov_b32 s0, 0x7060302
	s_mov_b32 s1, 0x5040100
	v_sub_u32_e32 v7, v8, v7
	v_and_or_b32 v3, v0, 4, v3
	v_lshlrev_b32_e32 v0, 2, v6
	v_and_or_b32 v6, v2, 4, v7
	v_lshl_or_b32 v0, v1, 9, v0
	v_lshlrev_b32_e32 v66, 2, v3
	v_lshlrev_b32_e32 v67, 2, v6
	v_mov_b32_e32 v28, 0
	v_mov_b32_e32 v31, 0
	;; [unrolled: 1-line block ×33, first 2 shown]
	v_or_b32_e32 v3, s7, v3
	v_mul_lo_u32 v3, v3, s12
	v_add3_u32 v3, s13, v6, v3
	s_lshl_b32 s6, s6, 1
	s_and_b32 s5, s5, 0xffff
	s_mov_b32 s7, s3
	v_lshlrev_b32_e32 v6, 1, v3
	s_waitcnt vmcnt(6)
	v_perm_b32 v11, v13, v5, s0
	v_perm_b32 v9, v12, v4, s0
	;; [unrolled: 1-line block ×4, first 2 shown]
	s_waitcnt vmcnt(4)
	v_perm_b32 v15, v17, v19, s0
	v_perm_b32 v13, v16, v18, s0
	;; [unrolled: 1-line block ×4, first 2 shown]
	v_mov_b32_e32 v4, 0
	v_mov_b32_e32 v5, 0
	s_waitcnt vmcnt(2)
	v_perm_b32 v19, v23, v21, s0
	v_perm_b32 v17, v22, v20, s0
	;; [unrolled: 1-line block ×4, first 2 shown]
	s_waitcnt vmcnt(0)
	v_perm_b32 v23, v25, v27, s0
	v_perm_b32 v21, v24, v26, s0
	;; [unrolled: 1-line block ×4, first 2 shown]
	ds_write_b128 v0, v[8:11]
	ds_write_b128 v0, v[12:15] offset:512
	ds_write_b128 v0, v[16:19] offset:16384
	ds_write_b128 v0, v[20:23] offset:16896
	s_waitcnt lgkmcnt(0)
	s_barrier
	ds_read_b128 v[54:57], v66
	ds_read_b128 v[58:61], v67 offset:16384
	ds_read_b128 v[68:71], v67 offset:16640
	;; [unrolled: 1-line block ×3, first 2 shown]
	v_mov_b32_e32 v25, 0
	v_mov_b32_e32 v11, 0
	;; [unrolled: 1-line block ×3, first 2 shown]
	s_waitcnt lgkmcnt(2)
	v_dot2c_f32_f16_e32 v25, v54, v58
	v_dot2c_f32_f16_e32 v28, v54, v59
	;; [unrolled: 1-line block ×4, first 2 shown]
	v_mov_b32_e32 v16, 0
	v_mov_b32_e32 v19, 0
	s_waitcnt lgkmcnt(1)
	v_dot2c_f32_f16_e32 v47, v54, v68
	v_dot2c_f32_f16_e32 v48, v54, v69
	v_dot2c_f32_f16_e32 v51, v54, v70
	v_dot2c_f32_f16_e32 v52, v54, v71
	v_mov_b32_e32 v54, 0
	v_dot2c_f32_f16_e32 v11, v55, v58
	v_dot2c_f32_f16_e32 v13, v55, v59
	;; [unrolled: 1-line block ×4, first 2 shown]
	v_mov_b32_e32 v12, 0
	v_mov_b32_e32 v14, 0
	v_mov_b32_e32 v18, 0
	v_mov_b32_e32 v20, 0
	v_mov_b32_e32 v8, 0
	v_mov_b32_e32 v9, 0
	v_mov_b32_e32 v10, 0
	v_dot2c_f32_f16_e32 v49, v55, v68
	v_dot2c_f32_f16_e32 v50, v55, v69
	;; [unrolled: 1-line block ×4, first 2 shown]
	v_mov_b32_e32 v15, 0
	v_mov_b32_e32 v26, 0
	;; [unrolled: 1-line block ×3, first 2 shown]
	v_dot2c_f32_f16_e32 v12, v56, v58
	v_dot2c_f32_f16_e32 v14, v56, v59
	;; [unrolled: 1-line block ×16, first 2 shown]
	s_waitcnt lgkmcnt(0)
	v_dot2c_f32_f16_e32 v1, v72, v58
	v_dot2c_f32_f16_e32 v15, v73, v58
	v_mov_b32_e32 v17, 0
	v_mov_b32_e32 v21, 0
	;; [unrolled: 1-line block ×3, first 2 shown]
	v_dot2c_f32_f16_e32 v26, v74, v58
	v_dot2c_f32_f16_e32 v55, v75, v58
	v_mov_b32_e32 v56, 0
	v_mov_b32_e32 v57, 0
	;; [unrolled: 1-line block ×4, first 2 shown]
	v_dot2c_f32_f16_e32 v2, v72, v59
	v_dot2c_f32_f16_e32 v4, v72, v60
	;; [unrolled: 1-line block ×12, first 2 shown]
	v_mov_b32_e32 v23, 0
	v_mov_b32_e32 v24, 0
	;; [unrolled: 1-line block ×6, first 2 shown]
	ds_read_b128 v[76:79], v66 offset:512
	ds_read_b128 v[80:83], v67 offset:16896
	v_dot2c_f32_f16_e32 v23, v72, v68
	v_dot2c_f32_f16_e32 v24, v72, v69
	v_dot2c_f32_f16_e32 v27, v72, v70
	v_dot2c_f32_f16_e32 v30, v72, v71
	v_dot2c_f32_f16_e32 v38, v73, v68
	v_dot2c_f32_f16_e32 v41, v73, v69
	v_dot2c_f32_f16_e32 v44, v73, v70
	v_dot2c_f32_f16_e32 v46, v73, v71
	v_dot2c_f32_f16_e32 v59, v74, v68
	v_dot2c_f32_f16_e32 v60, v74, v69
	v_dot2c_f32_f16_e32 v61, v74, v70
	v_dot2c_f32_f16_e32 v62, v74, v71
	v_dot2c_f32_f16_e32 v63, v75, v68
	v_dot2c_f32_f16_e32 v64, v75, v69
	v_dot2c_f32_f16_e32 v65, v75, v70
	v_dot2c_f32_f16_e32 v0, v75, v71
	ds_read_b128 v[68:71], v67 offset:17152
	ds_read_b128 v[72:75], v66 offset:768
	s_waitcnt lgkmcnt(2)
	v_dot2c_f32_f16_e32 v25, v76, v80
	v_dot2c_f32_f16_e32 v28, v76, v81
	;; [unrolled: 1-line block ×16, first 2 shown]
	s_waitcnt lgkmcnt(1)
	v_dot2c_f32_f16_e32 v47, v76, v68
	v_dot2c_f32_f16_e32 v48, v76, v69
	;; [unrolled: 1-line block ×16, first 2 shown]
	ds_read_b128 v[76:79], v66 offset:1024
	s_waitcnt lgkmcnt(1)
	v_dot2c_f32_f16_e32 v1, v72, v80
	v_dot2c_f32_f16_e32 v2, v72, v81
	;; [unrolled: 1-line block ×16, first 2 shown]
	ds_read_b128 v[80:83], v67 offset:17408
	v_dot2c_f32_f16_e32 v23, v72, v68
	v_dot2c_f32_f16_e32 v24, v72, v69
	;; [unrolled: 1-line block ×16, first 2 shown]
	ds_read_b128 v[68:71], v67 offset:17664
	ds_read_b128 v[72:75], v66 offset:1280
	s_waitcnt lgkmcnt(2)
	v_dot2c_f32_f16_e32 v25, v76, v80
	v_dot2c_f32_f16_e32 v28, v76, v81
	;; [unrolled: 1-line block ×16, first 2 shown]
	s_waitcnt lgkmcnt(1)
	v_dot2c_f32_f16_e32 v47, v76, v68
	v_dot2c_f32_f16_e32 v48, v76, v69
	;; [unrolled: 1-line block ×16, first 2 shown]
	ds_read_b128 v[76:79], v66 offset:1536
	s_waitcnt lgkmcnt(1)
	v_dot2c_f32_f16_e32 v1, v72, v80
	v_dot2c_f32_f16_e32 v2, v72, v81
	;; [unrolled: 1-line block ×16, first 2 shown]
	ds_read_b128 v[80:83], v67 offset:17920
	v_dot2c_f32_f16_e32 v23, v72, v68
	v_dot2c_f32_f16_e32 v24, v72, v69
	;; [unrolled: 1-line block ×16, first 2 shown]
	ds_read_b128 v[68:71], v67 offset:18176
	ds_read_b128 v[72:75], v66 offset:1792
	s_waitcnt lgkmcnt(2)
	v_dot2c_f32_f16_e32 v25, v76, v80
	v_dot2c_f32_f16_e32 v28, v76, v81
	;; [unrolled: 1-line block ×16, first 2 shown]
	s_waitcnt lgkmcnt(1)
	v_dot2c_f32_f16_e32 v47, v76, v68
	v_dot2c_f32_f16_e32 v48, v76, v69
	;; [unrolled: 1-line block ×16, first 2 shown]
	ds_read_b128 v[76:79], v66 offset:2048
	s_waitcnt lgkmcnt(1)
	v_dot2c_f32_f16_e32 v1, v72, v80
	v_dot2c_f32_f16_e32 v2, v72, v81
	;; [unrolled: 1-line block ×16, first 2 shown]
	ds_read_b128 v[80:83], v67 offset:18432
	v_dot2c_f32_f16_e32 v23, v72, v68
	v_dot2c_f32_f16_e32 v24, v72, v69
	;; [unrolled: 1-line block ×16, first 2 shown]
	ds_read_b128 v[68:71], v67 offset:18688
	ds_read_b128 v[72:75], v66 offset:2304
	s_waitcnt lgkmcnt(2)
	v_dot2c_f32_f16_e32 v25, v76, v80
	v_dot2c_f32_f16_e32 v28, v76, v81
	;; [unrolled: 1-line block ×16, first 2 shown]
	s_waitcnt lgkmcnt(1)
	v_dot2c_f32_f16_e32 v47, v76, v68
	v_dot2c_f32_f16_e32 v48, v76, v69
	;; [unrolled: 1-line block ×16, first 2 shown]
	ds_read_b128 v[76:79], v66 offset:2560
	s_waitcnt lgkmcnt(1)
	v_dot2c_f32_f16_e32 v1, v72, v80
	v_dot2c_f32_f16_e32 v2, v72, v81
	;; [unrolled: 1-line block ×16, first 2 shown]
	ds_read_b128 v[80:83], v67 offset:18944
	v_dot2c_f32_f16_e32 v23, v72, v68
	v_dot2c_f32_f16_e32 v24, v72, v69
	;; [unrolled: 1-line block ×16, first 2 shown]
	ds_read_b128 v[68:71], v67 offset:19200
	ds_read_b128 v[72:75], v66 offset:2816
	s_waitcnt lgkmcnt(2)
	v_dot2c_f32_f16_e32 v25, v76, v80
	v_dot2c_f32_f16_e32 v28, v76, v81
	;; [unrolled: 1-line block ×16, first 2 shown]
	s_waitcnt lgkmcnt(1)
	v_dot2c_f32_f16_e32 v47, v76, v68
	v_dot2c_f32_f16_e32 v48, v76, v69
	;; [unrolled: 1-line block ×16, first 2 shown]
	ds_read_b128 v[76:79], v66 offset:3072
	s_waitcnt lgkmcnt(1)
	v_dot2c_f32_f16_e32 v1, v72, v80
	v_dot2c_f32_f16_e32 v2, v72, v81
	;; [unrolled: 1-line block ×16, first 2 shown]
	ds_read_b128 v[80:83], v67 offset:19456
	v_dot2c_f32_f16_e32 v23, v72, v68
	v_dot2c_f32_f16_e32 v24, v72, v69
	;; [unrolled: 1-line block ×16, first 2 shown]
	ds_read_b128 v[68:71], v67 offset:19712
	ds_read_b128 v[72:75], v66 offset:3328
	s_waitcnt lgkmcnt(2)
	v_dot2c_f32_f16_e32 v25, v76, v80
	v_dot2c_f32_f16_e32 v28, v76, v81
	v_dot2c_f32_f16_e32 v31, v76, v82
	v_dot2c_f32_f16_e32 v33, v76, v83
	v_dot2c_f32_f16_e32 v11, v77, v80
	v_dot2c_f32_f16_e32 v13, v77, v81
	v_dot2c_f32_f16_e32 v16, v77, v82
	v_dot2c_f32_f16_e32 v19, v77, v83
	v_dot2c_f32_f16_e32 v12, v78, v80
	v_dot2c_f32_f16_e32 v14, v78, v81
	v_dot2c_f32_f16_e32 v18, v78, v82
	v_dot2c_f32_f16_e32 v20, v78, v83
	v_dot2c_f32_f16_e32 v7, v79, v80
	v_dot2c_f32_f16_e32 v8, v79, v81
	v_dot2c_f32_f16_e32 v9, v79, v82
	v_dot2c_f32_f16_e32 v10, v79, v83
	s_waitcnt lgkmcnt(1)
	v_dot2c_f32_f16_e32 v47, v76, v68
	v_dot2c_f32_f16_e32 v48, v76, v69
	;; [unrolled: 1-line block ×16, first 2 shown]
	ds_read_b128 v[76:79], v66 offset:3584
	s_waitcnt lgkmcnt(1)
	v_dot2c_f32_f16_e32 v1, v72, v80
	v_dot2c_f32_f16_e32 v2, v72, v81
	v_dot2c_f32_f16_e32 v4, v72, v82
	v_dot2c_f32_f16_e32 v5, v72, v83
	v_dot2c_f32_f16_e32 v15, v73, v80
	v_dot2c_f32_f16_e32 v17, v73, v81
	v_dot2c_f32_f16_e32 v21, v73, v82
	v_dot2c_f32_f16_e32 v22, v73, v83
	v_dot2c_f32_f16_e32 v26, v74, v80
	v_dot2c_f32_f16_e32 v29, v74, v81
	v_dot2c_f32_f16_e32 v32, v74, v82
	v_dot2c_f32_f16_e32 v34, v74, v83
	v_dot2c_f32_f16_e32 v55, v75, v80
	v_dot2c_f32_f16_e32 v56, v75, v81
	v_dot2c_f32_f16_e32 v57, v75, v82
	v_dot2c_f32_f16_e32 v58, v75, v83
	ds_read_b128 v[80:83], v67 offset:19968
	v_dot2c_f32_f16_e32 v23, v72, v68
	v_dot2c_f32_f16_e32 v24, v72, v69
	;; [unrolled: 1-line block ×16, first 2 shown]
	ds_read_b128 v[68:71], v67 offset:20224
	ds_read_b128 v[72:75], v66 offset:3840
	s_waitcnt lgkmcnt(2)
	v_dot2c_f32_f16_e32 v25, v76, v80
	v_dot2c_f32_f16_e32 v28, v76, v81
	;; [unrolled: 1-line block ×16, first 2 shown]
	s_waitcnt lgkmcnt(1)
	v_dot2c_f32_f16_e32 v47, v76, v68
	v_dot2c_f32_f16_e32 v48, v76, v69
	;; [unrolled: 1-line block ×16, first 2 shown]
	ds_read_b128 v[76:79], v66 offset:4096
	s_waitcnt lgkmcnt(1)
	v_dot2c_f32_f16_e32 v1, v72, v80
	v_dot2c_f32_f16_e32 v2, v72, v81
	;; [unrolled: 1-line block ×16, first 2 shown]
	ds_read_b128 v[80:83], v67 offset:20480
	v_dot2c_f32_f16_e32 v23, v72, v68
	v_dot2c_f32_f16_e32 v24, v72, v69
	v_dot2c_f32_f16_e32 v27, v72, v70
	v_dot2c_f32_f16_e32 v30, v72, v71
	v_dot2c_f32_f16_e32 v38, v73, v68
	v_dot2c_f32_f16_e32 v41, v73, v69
	v_dot2c_f32_f16_e32 v44, v73, v70
	v_dot2c_f32_f16_e32 v46, v73, v71
	v_dot2c_f32_f16_e32 v59, v74, v68
	v_dot2c_f32_f16_e32 v60, v74, v69
	v_dot2c_f32_f16_e32 v61, v74, v70
	v_dot2c_f32_f16_e32 v62, v74, v71
	v_dot2c_f32_f16_e32 v63, v75, v68
	v_dot2c_f32_f16_e32 v64, v75, v69
	v_dot2c_f32_f16_e32 v65, v75, v70
	v_dot2c_f32_f16_e32 v0, v75, v71
	ds_read_b128 v[68:71], v67 offset:20736
	ds_read_b128 v[72:75], v66 offset:4352
	s_waitcnt lgkmcnt(2)
	v_dot2c_f32_f16_e32 v25, v76, v80
	v_dot2c_f32_f16_e32 v28, v76, v81
	;; [unrolled: 1-line block ×16, first 2 shown]
	s_waitcnt lgkmcnt(1)
	v_dot2c_f32_f16_e32 v47, v76, v68
	v_dot2c_f32_f16_e32 v48, v76, v69
	;; [unrolled: 1-line block ×16, first 2 shown]
	ds_read_b128 v[76:79], v66 offset:4608
	s_waitcnt lgkmcnt(1)
	v_dot2c_f32_f16_e32 v1, v72, v80
	v_dot2c_f32_f16_e32 v2, v72, v81
	;; [unrolled: 1-line block ×16, first 2 shown]
	ds_read_b128 v[80:83], v67 offset:20992
	v_dot2c_f32_f16_e32 v23, v72, v68
	v_dot2c_f32_f16_e32 v24, v72, v69
	;; [unrolled: 1-line block ×16, first 2 shown]
	ds_read_b128 v[68:71], v67 offset:21248
	ds_read_b128 v[72:75], v66 offset:4864
	s_waitcnt lgkmcnt(2)
	v_dot2c_f32_f16_e32 v25, v76, v80
	v_dot2c_f32_f16_e32 v28, v76, v81
	v_dot2c_f32_f16_e32 v31, v76, v82
	v_dot2c_f32_f16_e32 v33, v76, v83
	v_dot2c_f32_f16_e32 v11, v77, v80
	v_dot2c_f32_f16_e32 v13, v77, v81
	v_dot2c_f32_f16_e32 v16, v77, v82
	v_dot2c_f32_f16_e32 v19, v77, v83
	v_dot2c_f32_f16_e32 v12, v78, v80
	v_dot2c_f32_f16_e32 v14, v78, v81
	v_dot2c_f32_f16_e32 v18, v78, v82
	v_dot2c_f32_f16_e32 v20, v78, v83
	v_dot2c_f32_f16_e32 v7, v79, v80
	v_dot2c_f32_f16_e32 v8, v79, v81
	v_dot2c_f32_f16_e32 v9, v79, v82
	v_dot2c_f32_f16_e32 v10, v79, v83
	s_waitcnt lgkmcnt(1)
	v_dot2c_f32_f16_e32 v47, v76, v68
	v_dot2c_f32_f16_e32 v48, v76, v69
	;; [unrolled: 1-line block ×16, first 2 shown]
	ds_read_b128 v[76:79], v66 offset:5120
	s_waitcnt lgkmcnt(1)
	v_dot2c_f32_f16_e32 v1, v72, v80
	v_dot2c_f32_f16_e32 v2, v72, v81
	;; [unrolled: 1-line block ×16, first 2 shown]
	ds_read_b128 v[80:83], v67 offset:21504
	v_dot2c_f32_f16_e32 v23, v72, v68
	v_dot2c_f32_f16_e32 v24, v72, v69
	;; [unrolled: 1-line block ×16, first 2 shown]
	ds_read_b128 v[68:71], v67 offset:21760
	ds_read_b128 v[72:75], v66 offset:5376
	s_waitcnt lgkmcnt(2)
	v_dot2c_f32_f16_e32 v25, v76, v80
	v_dot2c_f32_f16_e32 v28, v76, v81
	v_dot2c_f32_f16_e32 v31, v76, v82
	v_dot2c_f32_f16_e32 v33, v76, v83
	v_dot2c_f32_f16_e32 v11, v77, v80
	v_dot2c_f32_f16_e32 v13, v77, v81
	v_dot2c_f32_f16_e32 v16, v77, v82
	v_dot2c_f32_f16_e32 v19, v77, v83
	v_dot2c_f32_f16_e32 v12, v78, v80
	v_dot2c_f32_f16_e32 v14, v78, v81
	v_dot2c_f32_f16_e32 v18, v78, v82
	v_dot2c_f32_f16_e32 v20, v78, v83
	v_dot2c_f32_f16_e32 v7, v79, v80
	v_dot2c_f32_f16_e32 v8, v79, v81
	v_dot2c_f32_f16_e32 v9, v79, v82
	v_dot2c_f32_f16_e32 v10, v79, v83
	s_waitcnt lgkmcnt(1)
	v_dot2c_f32_f16_e32 v47, v76, v68
	v_dot2c_f32_f16_e32 v48, v76, v69
	;; [unrolled: 1-line block ×16, first 2 shown]
	ds_read_b128 v[76:79], v66 offset:5632
	s_waitcnt lgkmcnt(1)
	v_dot2c_f32_f16_e32 v1, v72, v80
	v_dot2c_f32_f16_e32 v2, v72, v81
	v_dot2c_f32_f16_e32 v4, v72, v82
	v_dot2c_f32_f16_e32 v5, v72, v83
	v_dot2c_f32_f16_e32 v15, v73, v80
	v_dot2c_f32_f16_e32 v17, v73, v81
	v_dot2c_f32_f16_e32 v21, v73, v82
	v_dot2c_f32_f16_e32 v22, v73, v83
	v_dot2c_f32_f16_e32 v26, v74, v80
	v_dot2c_f32_f16_e32 v29, v74, v81
	v_dot2c_f32_f16_e32 v32, v74, v82
	v_dot2c_f32_f16_e32 v34, v74, v83
	v_dot2c_f32_f16_e32 v55, v75, v80
	v_dot2c_f32_f16_e32 v56, v75, v81
	v_dot2c_f32_f16_e32 v57, v75, v82
	v_dot2c_f32_f16_e32 v58, v75, v83
	ds_read_b128 v[80:83], v67 offset:22016
	v_dot2c_f32_f16_e32 v23, v72, v68
	v_dot2c_f32_f16_e32 v24, v72, v69
	;; [unrolled: 1-line block ×16, first 2 shown]
	ds_read_b128 v[68:71], v67 offset:22272
	ds_read_b128 v[72:75], v66 offset:5888
	s_waitcnt lgkmcnt(2)
	v_dot2c_f32_f16_e32 v25, v76, v80
	v_dot2c_f32_f16_e32 v28, v76, v81
	;; [unrolled: 1-line block ×16, first 2 shown]
	s_waitcnt lgkmcnt(1)
	v_dot2c_f32_f16_e32 v47, v76, v68
	v_dot2c_f32_f16_e32 v48, v76, v69
	;; [unrolled: 1-line block ×16, first 2 shown]
	ds_read_b128 v[76:79], v66 offset:6144
	s_waitcnt lgkmcnt(1)
	v_dot2c_f32_f16_e32 v1, v72, v80
	v_dot2c_f32_f16_e32 v2, v72, v81
	;; [unrolled: 1-line block ×16, first 2 shown]
	ds_read_b128 v[80:83], v67 offset:22528
	v_dot2c_f32_f16_e32 v23, v72, v68
	v_dot2c_f32_f16_e32 v24, v72, v69
	;; [unrolled: 1-line block ×16, first 2 shown]
	ds_read_b128 v[68:71], v67 offset:22784
	ds_read_b128 v[72:75], v66 offset:6400
	s_waitcnt lgkmcnt(2)
	v_dot2c_f32_f16_e32 v25, v76, v80
	v_dot2c_f32_f16_e32 v28, v76, v81
	;; [unrolled: 1-line block ×16, first 2 shown]
	s_waitcnt lgkmcnt(1)
	v_dot2c_f32_f16_e32 v47, v76, v68
	v_dot2c_f32_f16_e32 v48, v76, v69
	;; [unrolled: 1-line block ×16, first 2 shown]
	ds_read_b128 v[76:79], v66 offset:6656
	s_waitcnt lgkmcnt(1)
	v_dot2c_f32_f16_e32 v1, v72, v80
	v_dot2c_f32_f16_e32 v2, v72, v81
	;; [unrolled: 1-line block ×16, first 2 shown]
	ds_read_b128 v[80:83], v67 offset:23040
	v_dot2c_f32_f16_e32 v23, v72, v68
	v_dot2c_f32_f16_e32 v24, v72, v69
	;; [unrolled: 1-line block ×16, first 2 shown]
	ds_read_b128 v[68:71], v67 offset:23296
	ds_read_b128 v[72:75], v66 offset:6912
	s_waitcnt lgkmcnt(2)
	v_dot2c_f32_f16_e32 v25, v76, v80
	v_dot2c_f32_f16_e32 v28, v76, v81
	;; [unrolled: 1-line block ×16, first 2 shown]
	s_waitcnt lgkmcnt(1)
	v_dot2c_f32_f16_e32 v47, v76, v68
	v_dot2c_f32_f16_e32 v48, v76, v69
	;; [unrolled: 1-line block ×16, first 2 shown]
	ds_read_b128 v[76:79], v66 offset:7168
	s_waitcnt lgkmcnt(1)
	v_dot2c_f32_f16_e32 v1, v72, v80
	v_dot2c_f32_f16_e32 v2, v72, v81
	;; [unrolled: 1-line block ×16, first 2 shown]
	ds_read_b128 v[80:83], v67 offset:23552
	v_dot2c_f32_f16_e32 v23, v72, v68
	v_dot2c_f32_f16_e32 v24, v72, v69
	;; [unrolled: 1-line block ×16, first 2 shown]
	ds_read_b128 v[68:71], v67 offset:23808
	ds_read_b128 v[72:75], v66 offset:7424
	s_waitcnt lgkmcnt(2)
	v_dot2c_f32_f16_e32 v25, v76, v80
	v_dot2c_f32_f16_e32 v28, v76, v81
	;; [unrolled: 1-line block ×16, first 2 shown]
	s_waitcnt lgkmcnt(1)
	v_dot2c_f32_f16_e32 v47, v76, v68
	v_dot2c_f32_f16_e32 v48, v76, v69
	;; [unrolled: 1-line block ×16, first 2 shown]
	ds_read_b128 v[76:79], v66 offset:7680
	s_waitcnt lgkmcnt(1)
	v_dot2c_f32_f16_e32 v1, v72, v80
	v_dot2c_f32_f16_e32 v2, v72, v81
	;; [unrolled: 1-line block ×16, first 2 shown]
	ds_read_b128 v[80:83], v67 offset:24064
	v_dot2c_f32_f16_e32 v23, v72, v68
	v_dot2c_f32_f16_e32 v24, v72, v69
	;; [unrolled: 1-line block ×16, first 2 shown]
	ds_read_b128 v[68:71], v67 offset:24320
	ds_read_b128 v[72:75], v66 offset:7936
	s_waitcnt lgkmcnt(2)
	v_dot2c_f32_f16_e32 v25, v76, v80
	v_dot2c_f32_f16_e32 v28, v76, v81
	;; [unrolled: 1-line block ×4, first 2 shown]
	s_waitcnt lgkmcnt(1)
	v_dot2c_f32_f16_e32 v47, v76, v68
	v_cvt_pk_f16_f32 v66, v25, v28
	v_dot2c_f32_f16_e32 v48, v76, v69
	v_cvt_pk_f16_f32 v67, v31, v33
	v_dot2c_f32_f16_e32 v51, v76, v70
	v_dot2c_f32_f16_e32 v52, v76, v71
	;; [unrolled: 1-line block ×6, first 2 shown]
	buffer_store_dwordx2 v[66:67], v6, s[4:7], 0 offen
	v_add_u32_e32 v6, 64, v3
	v_dot2c_f32_f16_e32 v11, v77, v80
	v_dot2c_f32_f16_e32 v13, v77, v81
	;; [unrolled: 1-line block ×4, first 2 shown]
	v_cvt_pk_f16_f32 v67, v51, v52
	v_cvt_pk_f16_f32 v66, v47, v48
	v_lshlrev_b32_e32 v25, 1, v6
	v_cvt_pk_f16_f32 v51, v53, v54
	v_cvt_pk_f16_f32 v50, v49, v50
	v_add_lshl_u32 v6, v6, s12, 1
	v_add_u32_e32 v3, s12, v3
	v_dot2c_f32_f16_e32 v12, v78, v80
	v_dot2c_f32_f16_e32 v14, v78, v81
	;; [unrolled: 1-line block ×4, first 2 shown]
	buffer_store_dwordx2 v[66:67], v25, s[4:7], 0 offen
	buffer_store_dwordx2 v[50:51], v6, s[4:7], 0 offen
	v_cvt_pk_f16_f32 v49, v16, v19
	v_cvt_pk_f16_f32 v48, v11, v13
	v_lshlrev_b32_e32 v6, 1, v3
	v_add_u32_e32 v3, s12, v3
	buffer_store_dwordx2 v[48:49], v6, s[4:7], 0 offen
	v_cvt_pk_f16_f32 v13, v18, v20
	v_cvt_pk_f16_f32 v12, v12, v14
	v_lshlrev_b32_e32 v6, 1, v3
	v_dot2c_f32_f16_e32 v35, v78, v68
	v_dot2c_f32_f16_e32 v36, v78, v69
	;; [unrolled: 1-line block ×4, first 2 shown]
	buffer_store_dwordx2 v[12:13], v6, s[4:7], 0 offen
	v_add_u32_e32 v6, 64, v3
	v_dot2c_f32_f16_e32 v37, v79, v68
	v_dot2c_f32_f16_e32 v39, v79, v69
	v_dot2c_f32_f16_e32 v43, v79, v70
	v_dot2c_f32_f16_e32 v45, v79, v71
	v_cvt_pk_f16_f32 v13, v40, v42
	v_cvt_pk_f16_f32 v12, v35, v36
	v_lshlrev_b32_e32 v11, 1, v6
	v_dot2c_f32_f16_e32 v7, v79, v80
	v_dot2c_f32_f16_e32 v8, v79, v81
	;; [unrolled: 1-line block ×4, first 2 shown]
	buffer_store_dwordx2 v[12:13], v11, s[4:7], 0 offen
	v_cvt_pk_f16_f32 v13, v43, v45
	v_cvt_pk_f16_f32 v12, v37, v39
	v_add_lshl_u32 v6, v6, s12, 1
	v_add_u32_e32 v3, s12, v3
	s_waitcnt lgkmcnt(0)
	v_dot2c_f32_f16_e32 v55, v75, v80
	v_dot2c_f32_f16_e32 v56, v75, v81
	v_dot2c_f32_f16_e32 v57, v75, v82
	v_dot2c_f32_f16_e32 v58, v75, v83
	buffer_store_dwordx2 v[12:13], v6, s[4:7], 0 offen
	v_cvt_pk_f16_f32 v9, v9, v10
	v_cvt_pk_f16_f32 v8, v7, v8
	v_lshlrev_b32_e32 v6, 1, v3
	v_lshl_add_u32 v3, s12, 6, v3
	v_dot2c_f32_f16_e32 v63, v75, v68
	v_dot2c_f32_f16_e32 v64, v75, v69
	;; [unrolled: 1-line block ×4, first 2 shown]
	buffer_store_dwordx2 v[8:9], v6, s[4:7], 0 offen
	v_cvt_pk_f16_f32 v7, v57, v58
	v_cvt_pk_f16_f32 v6, v55, v56
	v_lshlrev_b32_e32 v8, 1, v3
	v_add_u32_e32 v3, 64, v3
	buffer_store_dwordx2 v[6:7], v8, s[4:7], 0 offen
	v_cvt_pk_f16_f32 v7, v65, v0
	v_cvt_pk_f16_f32 v6, v63, v64
	v_lshlrev_b32_e32 v0, 1, v3
	v_dot2c_f32_f16_e32 v59, v74, v68
	v_dot2c_f32_f16_e32 v60, v74, v69
	;; [unrolled: 1-line block ×4, first 2 shown]
	buffer_store_dwordx2 v[6:7], v0, s[4:7], 0 offen
	v_subrev_u32_e32 v0, s12, v3
	v_dot2c_f32_f16_e32 v26, v74, v80
	v_dot2c_f32_f16_e32 v29, v74, v81
	;; [unrolled: 1-line block ×4, first 2 shown]
	v_cvt_pk_f16_f32 v7, v61, v62
	v_cvt_pk_f16_f32 v6, v59, v60
	v_lshlrev_b32_e32 v3, 1, v0
	v_subrev_u32_e32 v0, 64, v0
	v_dot2c_f32_f16_e32 v15, v73, v80
	v_dot2c_f32_f16_e32 v17, v73, v81
	;; [unrolled: 1-line block ×4, first 2 shown]
	buffer_store_dwordx2 v[6:7], v3, s[4:7], 0 offen
	v_cvt_pk_f16_f32 v7, v32, v34
	v_cvt_pk_f16_f32 v6, v26, v29
	v_lshlrev_b32_e32 v3, 1, v0
	v_subrev_u32_e32 v0, s12, v0
	v_dot2c_f32_f16_e32 v38, v73, v68
	v_dot2c_f32_f16_e32 v41, v73, v69
	;; [unrolled: 1-line block ×4, first 2 shown]
	buffer_store_dwordx2 v[6:7], v3, s[4:7], 0 offen
	v_cvt_pk_f16_f32 v7, v21, v22
	v_cvt_pk_f16_f32 v6, v15, v17
	v_lshlrev_b32_e32 v3, 1, v0
	v_add_u32_e32 v0, 64, v0
	v_dot2c_f32_f16_e32 v23, v72, v68
	v_dot2c_f32_f16_e32 v24, v72, v69
	;; [unrolled: 1-line block ×4, first 2 shown]
	buffer_store_dwordx2 v[6:7], v3, s[4:7], 0 offen
	v_cvt_pk_f16_f32 v7, v44, v46
	v_cvt_pk_f16_f32 v6, v38, v41
	v_lshlrev_b32_e32 v3, 1, v0
	v_subrev_u32_e32 v0, s12, v0
	v_dot2c_f32_f16_e32 v1, v72, v80
	v_dot2c_f32_f16_e32 v2, v72, v81
	;; [unrolled: 1-line block ×4, first 2 shown]
	buffer_store_dwordx2 v[6:7], v3, s[4:7], 0 offen
	v_cvt_pk_f16_f32 v7, v27, v30
	v_cvt_pk_f16_f32 v6, v23, v24
	v_lshlrev_b32_e32 v0, 1, v0
	buffer_store_dwordx2 v[6:7], v0, s[4:7], 0 offen
	v_cvt_pk_f16_f32 v3, v4, v5
	v_cvt_pk_f16_f32 v2, v1, v2
	v_add_u32_e32 v0, 0xffffff80, v0
	buffer_store_dwordx2 v[2:3], v0, s[4:7], 0 offen
	s_endpgm
	.section	.rodata,"a",@progbits
	.p2align	6, 0x0
	.amdhsa_kernel _ZN2ck19kernel_gemm_dl_v1r3INS_28GridwiseGemmDl_km_kn_mn_v1r3ILi256EDF16_fDF16_LNS_25InMemoryDataOperationEnumE0ENS_16TensorDescriptorINS_5TupleIJNS_5EmbedINS4_IJiiEEENS4_IJNS_17integral_constantIiLi1EEEiEEELb0EEENS_7UnMergeINS4_IJiNS7_IiLi2EEEEEELb0EEENS_11PassThroughIiEEEEENS4_IJNS_8SequenceIJLi0EEEENSI_IJLi2EEEENSI_IJLi1EEEEEEENS4_IJNSI_IJLi1ELi2EEEENSI_IJLi3ELi4EEEENSI_IJLi5EEEEEEENSI_IJLi3ELi5ELi4EEEElEENS3_INS4_IJNS5_IS6_NS4_IJiS8_EEELb0EEESE_SG_EEENS4_IJSJ_SL_SK_EEESQ_SR_lEENS3_INS4_IJSU_SG_SG_EEESW_NS4_IJSN_NSI_IJLi3EEEENSI_IJLi4EEEEEEESO_lEELi128ELi128ELi16ELi2ELi4ELi4ELi1ENSI_IJLi8ELi2EEEES13_NSI_IJLi2ELi1ELi4ELi2EEEENSI_IJLi8ELi1ELi32ELi1EEEENSI_IJLi0ELi3ELi1ELi2EEEES16_NSI_IJLi1ELi1ELi4ELi1EEEES16_NSI_IJLi1ELi1ELi4ELi2EEEES14_S15_S16_S16_S17_S16_S18_NSI_IJLi0ELi1ELi2ELi3ELi4ELi5EEEELi5ELi4EEEDF16_DF16_NS3_INS4_IJSA_SE_SG_SG_NSB_INS4_IJiNS7_IiLi128EEEEEELb0EEENSF_ISC_EEEEENS4_IJSJ_SK_SL_SZ_SP_S10_EEENS4_IJSN_SO_SP_NSI_IJLi6EEEENSI_IJLi7ELi8EEEENSI_IJLi9EEEEEEENSI_IJLi6ELi7ELi8ELi9EEEElEENS3_INS4_IJSU_SE_SG_SG_S1D_S1E_EEENS4_IJSJ_SL_SK_SZ_SP_S10_EEES1K_S1L_lEENS3_INS4_IJSU_SG_SG_NSB_INS4_IJiSC_NS7_IiLi64EEEEEELb0EEES1S_EEENS4_IJSJ_SL_SK_SZ_S10_EEENS4_IJSN_SZ_S10_NSI_IJLi5ELi6ELi7EEEENSI_IJLi8ELi9ELi10EEEEEEENSI_IJLi5ELi6ELi7ELi8ELi9ELi10EEEElEENS_31BlockToCTileMap_M00_N00_M01_N01ILi128ELi128ES12_Lb0EEELb0ELb0EEEvPKT0_S24_PT1_T2_T3_T4_T5_
		.amdhsa_group_segment_fixed_size 32768
		.amdhsa_private_segment_fixed_size 0
		.amdhsa_kernarg_size 328
		.amdhsa_user_sgpr_count 2
		.amdhsa_user_sgpr_dispatch_ptr 0
		.amdhsa_user_sgpr_queue_ptr 0
		.amdhsa_user_sgpr_kernarg_segment_ptr 1
		.amdhsa_user_sgpr_dispatch_id 0
		.amdhsa_user_sgpr_kernarg_preload_length 0
		.amdhsa_user_sgpr_kernarg_preload_offset 0
		.amdhsa_user_sgpr_private_segment_size 0
		.amdhsa_uses_dynamic_stack 0
		.amdhsa_enable_private_segment 0
		.amdhsa_system_sgpr_workgroup_id_x 1
		.amdhsa_system_sgpr_workgroup_id_y 0
		.amdhsa_system_sgpr_workgroup_id_z 0
		.amdhsa_system_sgpr_workgroup_info 0
		.amdhsa_system_vgpr_workitem_id 0
		.amdhsa_next_free_vgpr 84
		.amdhsa_next_free_sgpr 96
		.amdhsa_accum_offset 84
		.amdhsa_reserve_vcc 0
		.amdhsa_float_round_mode_32 0
		.amdhsa_float_round_mode_16_64 0
		.amdhsa_float_denorm_mode_32 3
		.amdhsa_float_denorm_mode_16_64 3
		.amdhsa_dx10_clamp 1
		.amdhsa_ieee_mode 1
		.amdhsa_fp16_overflow 0
		.amdhsa_tg_split 0
		.amdhsa_exception_fp_ieee_invalid_op 0
		.amdhsa_exception_fp_denorm_src 0
		.amdhsa_exception_fp_ieee_div_zero 0
		.amdhsa_exception_fp_ieee_overflow 0
		.amdhsa_exception_fp_ieee_underflow 0
		.amdhsa_exception_fp_ieee_inexact 0
		.amdhsa_exception_int_div_zero 0
	.end_amdhsa_kernel
	.section	.text._ZN2ck19kernel_gemm_dl_v1r3INS_28GridwiseGemmDl_km_kn_mn_v1r3ILi256EDF16_fDF16_LNS_25InMemoryDataOperationEnumE0ENS_16TensorDescriptorINS_5TupleIJNS_5EmbedINS4_IJiiEEENS4_IJNS_17integral_constantIiLi1EEEiEEELb0EEENS_7UnMergeINS4_IJiNS7_IiLi2EEEEEELb0EEENS_11PassThroughIiEEEEENS4_IJNS_8SequenceIJLi0EEEENSI_IJLi2EEEENSI_IJLi1EEEEEEENS4_IJNSI_IJLi1ELi2EEEENSI_IJLi3ELi4EEEENSI_IJLi5EEEEEEENSI_IJLi3ELi5ELi4EEEElEENS3_INS4_IJNS5_IS6_NS4_IJiS8_EEELb0EEESE_SG_EEENS4_IJSJ_SL_SK_EEESQ_SR_lEENS3_INS4_IJSU_SG_SG_EEESW_NS4_IJSN_NSI_IJLi3EEEENSI_IJLi4EEEEEEESO_lEELi128ELi128ELi16ELi2ELi4ELi4ELi1ENSI_IJLi8ELi2EEEES13_NSI_IJLi2ELi1ELi4ELi2EEEENSI_IJLi8ELi1ELi32ELi1EEEENSI_IJLi0ELi3ELi1ELi2EEEES16_NSI_IJLi1ELi1ELi4ELi1EEEES16_NSI_IJLi1ELi1ELi4ELi2EEEES14_S15_S16_S16_S17_S16_S18_NSI_IJLi0ELi1ELi2ELi3ELi4ELi5EEEELi5ELi4EEEDF16_DF16_NS3_INS4_IJSA_SE_SG_SG_NSB_INS4_IJiNS7_IiLi128EEEEEELb0EEENSF_ISC_EEEEENS4_IJSJ_SK_SL_SZ_SP_S10_EEENS4_IJSN_SO_SP_NSI_IJLi6EEEENSI_IJLi7ELi8EEEENSI_IJLi9EEEEEEENSI_IJLi6ELi7ELi8ELi9EEEElEENS3_INS4_IJSU_SE_SG_SG_S1D_S1E_EEENS4_IJSJ_SL_SK_SZ_SP_S10_EEES1K_S1L_lEENS3_INS4_IJSU_SG_SG_NSB_INS4_IJiSC_NS7_IiLi64EEEEEELb0EEES1S_EEENS4_IJSJ_SL_SK_SZ_S10_EEENS4_IJSN_SZ_S10_NSI_IJLi5ELi6ELi7EEEENSI_IJLi8ELi9ELi10EEEEEEENSI_IJLi5ELi6ELi7ELi8ELi9ELi10EEEElEENS_31BlockToCTileMap_M00_N00_M01_N01ILi128ELi128ES12_Lb0EEELb0ELb0EEEvPKT0_S24_PT1_T2_T3_T4_T5_,"axG",@progbits,_ZN2ck19kernel_gemm_dl_v1r3INS_28GridwiseGemmDl_km_kn_mn_v1r3ILi256EDF16_fDF16_LNS_25InMemoryDataOperationEnumE0ENS_16TensorDescriptorINS_5TupleIJNS_5EmbedINS4_IJiiEEENS4_IJNS_17integral_constantIiLi1EEEiEEELb0EEENS_7UnMergeINS4_IJiNS7_IiLi2EEEEEELb0EEENS_11PassThroughIiEEEEENS4_IJNS_8SequenceIJLi0EEEENSI_IJLi2EEEENSI_IJLi1EEEEEEENS4_IJNSI_IJLi1ELi2EEEENSI_IJLi3ELi4EEEENSI_IJLi5EEEEEEENSI_IJLi3ELi5ELi4EEEElEENS3_INS4_IJNS5_IS6_NS4_IJiS8_EEELb0EEESE_SG_EEENS4_IJSJ_SL_SK_EEESQ_SR_lEENS3_INS4_IJSU_SG_SG_EEESW_NS4_IJSN_NSI_IJLi3EEEENSI_IJLi4EEEEEEESO_lEELi128ELi128ELi16ELi2ELi4ELi4ELi1ENSI_IJLi8ELi2EEEES13_NSI_IJLi2ELi1ELi4ELi2EEEENSI_IJLi8ELi1ELi32ELi1EEEENSI_IJLi0ELi3ELi1ELi2EEEES16_NSI_IJLi1ELi1ELi4ELi1EEEES16_NSI_IJLi1ELi1ELi4ELi2EEEES14_S15_S16_S16_S17_S16_S18_NSI_IJLi0ELi1ELi2ELi3ELi4ELi5EEEELi5ELi4EEEDF16_DF16_NS3_INS4_IJSA_SE_SG_SG_NSB_INS4_IJiNS7_IiLi128EEEEEELb0EEENSF_ISC_EEEEENS4_IJSJ_SK_SL_SZ_SP_S10_EEENS4_IJSN_SO_SP_NSI_IJLi6EEEENSI_IJLi7ELi8EEEENSI_IJLi9EEEEEEENSI_IJLi6ELi7ELi8ELi9EEEElEENS3_INS4_IJSU_SE_SG_SG_S1D_S1E_EEENS4_IJSJ_SL_SK_SZ_SP_S10_EEES1K_S1L_lEENS3_INS4_IJSU_SG_SG_NSB_INS4_IJiSC_NS7_IiLi64EEEEEELb0EEES1S_EEENS4_IJSJ_SL_SK_SZ_S10_EEENS4_IJSN_SZ_S10_NSI_IJLi5ELi6ELi7EEEENSI_IJLi8ELi9ELi10EEEEEEENSI_IJLi5ELi6ELi7ELi8ELi9ELi10EEEElEENS_31BlockToCTileMap_M00_N00_M01_N01ILi128ELi128ES12_Lb0EEELb0ELb0EEEvPKT0_S24_PT1_T2_T3_T4_T5_,comdat
.Lfunc_end4:
	.size	_ZN2ck19kernel_gemm_dl_v1r3INS_28GridwiseGemmDl_km_kn_mn_v1r3ILi256EDF16_fDF16_LNS_25InMemoryDataOperationEnumE0ENS_16TensorDescriptorINS_5TupleIJNS_5EmbedINS4_IJiiEEENS4_IJNS_17integral_constantIiLi1EEEiEEELb0EEENS_7UnMergeINS4_IJiNS7_IiLi2EEEEEELb0EEENS_11PassThroughIiEEEEENS4_IJNS_8SequenceIJLi0EEEENSI_IJLi2EEEENSI_IJLi1EEEEEEENS4_IJNSI_IJLi1ELi2EEEENSI_IJLi3ELi4EEEENSI_IJLi5EEEEEEENSI_IJLi3ELi5ELi4EEEElEENS3_INS4_IJNS5_IS6_NS4_IJiS8_EEELb0EEESE_SG_EEENS4_IJSJ_SL_SK_EEESQ_SR_lEENS3_INS4_IJSU_SG_SG_EEESW_NS4_IJSN_NSI_IJLi3EEEENSI_IJLi4EEEEEEESO_lEELi128ELi128ELi16ELi2ELi4ELi4ELi1ENSI_IJLi8ELi2EEEES13_NSI_IJLi2ELi1ELi4ELi2EEEENSI_IJLi8ELi1ELi32ELi1EEEENSI_IJLi0ELi3ELi1ELi2EEEES16_NSI_IJLi1ELi1ELi4ELi1EEEES16_NSI_IJLi1ELi1ELi4ELi2EEEES14_S15_S16_S16_S17_S16_S18_NSI_IJLi0ELi1ELi2ELi3ELi4ELi5EEEELi5ELi4EEEDF16_DF16_NS3_INS4_IJSA_SE_SG_SG_NSB_INS4_IJiNS7_IiLi128EEEEEELb0EEENSF_ISC_EEEEENS4_IJSJ_SK_SL_SZ_SP_S10_EEENS4_IJSN_SO_SP_NSI_IJLi6EEEENSI_IJLi7ELi8EEEENSI_IJLi9EEEEEEENSI_IJLi6ELi7ELi8ELi9EEEElEENS3_INS4_IJSU_SE_SG_SG_S1D_S1E_EEENS4_IJSJ_SL_SK_SZ_SP_S10_EEES1K_S1L_lEENS3_INS4_IJSU_SG_SG_NSB_INS4_IJiSC_NS7_IiLi64EEEEEELb0EEES1S_EEENS4_IJSJ_SL_SK_SZ_S10_EEENS4_IJSN_SZ_S10_NSI_IJLi5ELi6ELi7EEEENSI_IJLi8ELi9ELi10EEEEEEENSI_IJLi5ELi6ELi7ELi8ELi9ELi10EEEElEENS_31BlockToCTileMap_M00_N00_M01_N01ILi128ELi128ES12_Lb0EEELb0ELb0EEEvPKT0_S24_PT1_T2_T3_T4_T5_, .Lfunc_end4-_ZN2ck19kernel_gemm_dl_v1r3INS_28GridwiseGemmDl_km_kn_mn_v1r3ILi256EDF16_fDF16_LNS_25InMemoryDataOperationEnumE0ENS_16TensorDescriptorINS_5TupleIJNS_5EmbedINS4_IJiiEEENS4_IJNS_17integral_constantIiLi1EEEiEEELb0EEENS_7UnMergeINS4_IJiNS7_IiLi2EEEEEELb0EEENS_11PassThroughIiEEEEENS4_IJNS_8SequenceIJLi0EEEENSI_IJLi2EEEENSI_IJLi1EEEEEEENS4_IJNSI_IJLi1ELi2EEEENSI_IJLi3ELi4EEEENSI_IJLi5EEEEEEENSI_IJLi3ELi5ELi4EEEElEENS3_INS4_IJNS5_IS6_NS4_IJiS8_EEELb0EEESE_SG_EEENS4_IJSJ_SL_SK_EEESQ_SR_lEENS3_INS4_IJSU_SG_SG_EEESW_NS4_IJSN_NSI_IJLi3EEEENSI_IJLi4EEEEEEESO_lEELi128ELi128ELi16ELi2ELi4ELi4ELi1ENSI_IJLi8ELi2EEEES13_NSI_IJLi2ELi1ELi4ELi2EEEENSI_IJLi8ELi1ELi32ELi1EEEENSI_IJLi0ELi3ELi1ELi2EEEES16_NSI_IJLi1ELi1ELi4ELi1EEEES16_NSI_IJLi1ELi1ELi4ELi2EEEES14_S15_S16_S16_S17_S16_S18_NSI_IJLi0ELi1ELi2ELi3ELi4ELi5EEEELi5ELi4EEEDF16_DF16_NS3_INS4_IJSA_SE_SG_SG_NSB_INS4_IJiNS7_IiLi128EEEEEELb0EEENSF_ISC_EEEEENS4_IJSJ_SK_SL_SZ_SP_S10_EEENS4_IJSN_SO_SP_NSI_IJLi6EEEENSI_IJLi7ELi8EEEENSI_IJLi9EEEEEEENSI_IJLi6ELi7ELi8ELi9EEEElEENS3_INS4_IJSU_SE_SG_SG_S1D_S1E_EEENS4_IJSJ_SL_SK_SZ_SP_S10_EEES1K_S1L_lEENS3_INS4_IJSU_SG_SG_NSB_INS4_IJiSC_NS7_IiLi64EEEEEELb0EEES1S_EEENS4_IJSJ_SL_SK_SZ_S10_EEENS4_IJSN_SZ_S10_NSI_IJLi5ELi6ELi7EEEENSI_IJLi8ELi9ELi10EEEEEEENSI_IJLi5ELi6ELi7ELi8ELi9ELi10EEEElEENS_31BlockToCTileMap_M00_N00_M01_N01ILi128ELi128ES12_Lb0EEELb0ELb0EEEvPKT0_S24_PT1_T2_T3_T4_T5_
                                        ; -- End function
	.set _ZN2ck19kernel_gemm_dl_v1r3INS_28GridwiseGemmDl_km_kn_mn_v1r3ILi256EDF16_fDF16_LNS_25InMemoryDataOperationEnumE0ENS_16TensorDescriptorINS_5TupleIJNS_5EmbedINS4_IJiiEEENS4_IJNS_17integral_constantIiLi1EEEiEEELb0EEENS_7UnMergeINS4_IJiNS7_IiLi2EEEEEELb0EEENS_11PassThroughIiEEEEENS4_IJNS_8SequenceIJLi0EEEENSI_IJLi2EEEENSI_IJLi1EEEEEEENS4_IJNSI_IJLi1ELi2EEEENSI_IJLi3ELi4EEEENSI_IJLi5EEEEEEENSI_IJLi3ELi5ELi4EEEElEENS3_INS4_IJNS5_IS6_NS4_IJiS8_EEELb0EEESE_SG_EEENS4_IJSJ_SL_SK_EEESQ_SR_lEENS3_INS4_IJSU_SG_SG_EEESW_NS4_IJSN_NSI_IJLi3EEEENSI_IJLi4EEEEEEESO_lEELi128ELi128ELi16ELi2ELi4ELi4ELi1ENSI_IJLi8ELi2EEEES13_NSI_IJLi2ELi1ELi4ELi2EEEENSI_IJLi8ELi1ELi32ELi1EEEENSI_IJLi0ELi3ELi1ELi2EEEES16_NSI_IJLi1ELi1ELi4ELi1EEEES16_NSI_IJLi1ELi1ELi4ELi2EEEES14_S15_S16_S16_S17_S16_S18_NSI_IJLi0ELi1ELi2ELi3ELi4ELi5EEEELi5ELi4EEEDF16_DF16_NS3_INS4_IJSA_SE_SG_SG_NSB_INS4_IJiNS7_IiLi128EEEEEELb0EEENSF_ISC_EEEEENS4_IJSJ_SK_SL_SZ_SP_S10_EEENS4_IJSN_SO_SP_NSI_IJLi6EEEENSI_IJLi7ELi8EEEENSI_IJLi9EEEEEEENSI_IJLi6ELi7ELi8ELi9EEEElEENS3_INS4_IJSU_SE_SG_SG_S1D_S1E_EEENS4_IJSJ_SL_SK_SZ_SP_S10_EEES1K_S1L_lEENS3_INS4_IJSU_SG_SG_NSB_INS4_IJiSC_NS7_IiLi64EEEEEELb0EEES1S_EEENS4_IJSJ_SL_SK_SZ_S10_EEENS4_IJSN_SZ_S10_NSI_IJLi5ELi6ELi7EEEENSI_IJLi8ELi9ELi10EEEEEEENSI_IJLi5ELi6ELi7ELi8ELi9ELi10EEEElEENS_31BlockToCTileMap_M00_N00_M01_N01ILi128ELi128ES12_Lb0EEELb0ELb0EEEvPKT0_S24_PT1_T2_T3_T4_T5_.num_vgpr, 84
	.set _ZN2ck19kernel_gemm_dl_v1r3INS_28GridwiseGemmDl_km_kn_mn_v1r3ILi256EDF16_fDF16_LNS_25InMemoryDataOperationEnumE0ENS_16TensorDescriptorINS_5TupleIJNS_5EmbedINS4_IJiiEEENS4_IJNS_17integral_constantIiLi1EEEiEEELb0EEENS_7UnMergeINS4_IJiNS7_IiLi2EEEEEELb0EEENS_11PassThroughIiEEEEENS4_IJNS_8SequenceIJLi0EEEENSI_IJLi2EEEENSI_IJLi1EEEEEEENS4_IJNSI_IJLi1ELi2EEEENSI_IJLi3ELi4EEEENSI_IJLi5EEEEEEENSI_IJLi3ELi5ELi4EEEElEENS3_INS4_IJNS5_IS6_NS4_IJiS8_EEELb0EEESE_SG_EEENS4_IJSJ_SL_SK_EEESQ_SR_lEENS3_INS4_IJSU_SG_SG_EEESW_NS4_IJSN_NSI_IJLi3EEEENSI_IJLi4EEEEEEESO_lEELi128ELi128ELi16ELi2ELi4ELi4ELi1ENSI_IJLi8ELi2EEEES13_NSI_IJLi2ELi1ELi4ELi2EEEENSI_IJLi8ELi1ELi32ELi1EEEENSI_IJLi0ELi3ELi1ELi2EEEES16_NSI_IJLi1ELi1ELi4ELi1EEEES16_NSI_IJLi1ELi1ELi4ELi2EEEES14_S15_S16_S16_S17_S16_S18_NSI_IJLi0ELi1ELi2ELi3ELi4ELi5EEEELi5ELi4EEEDF16_DF16_NS3_INS4_IJSA_SE_SG_SG_NSB_INS4_IJiNS7_IiLi128EEEEEELb0EEENSF_ISC_EEEEENS4_IJSJ_SK_SL_SZ_SP_S10_EEENS4_IJSN_SO_SP_NSI_IJLi6EEEENSI_IJLi7ELi8EEEENSI_IJLi9EEEEEEENSI_IJLi6ELi7ELi8ELi9EEEElEENS3_INS4_IJSU_SE_SG_SG_S1D_S1E_EEENS4_IJSJ_SL_SK_SZ_SP_S10_EEES1K_S1L_lEENS3_INS4_IJSU_SG_SG_NSB_INS4_IJiSC_NS7_IiLi64EEEEEELb0EEES1S_EEENS4_IJSJ_SL_SK_SZ_S10_EEENS4_IJSN_SZ_S10_NSI_IJLi5ELi6ELi7EEEENSI_IJLi8ELi9ELi10EEEEEEENSI_IJLi5ELi6ELi7ELi8ELi9ELi10EEEElEENS_31BlockToCTileMap_M00_N00_M01_N01ILi128ELi128ES12_Lb0EEELb0ELb0EEEvPKT0_S24_PT1_T2_T3_T4_T5_.num_agpr, 0
	.set _ZN2ck19kernel_gemm_dl_v1r3INS_28GridwiseGemmDl_km_kn_mn_v1r3ILi256EDF16_fDF16_LNS_25InMemoryDataOperationEnumE0ENS_16TensorDescriptorINS_5TupleIJNS_5EmbedINS4_IJiiEEENS4_IJNS_17integral_constantIiLi1EEEiEEELb0EEENS_7UnMergeINS4_IJiNS7_IiLi2EEEEEELb0EEENS_11PassThroughIiEEEEENS4_IJNS_8SequenceIJLi0EEEENSI_IJLi2EEEENSI_IJLi1EEEEEEENS4_IJNSI_IJLi1ELi2EEEENSI_IJLi3ELi4EEEENSI_IJLi5EEEEEEENSI_IJLi3ELi5ELi4EEEElEENS3_INS4_IJNS5_IS6_NS4_IJiS8_EEELb0EEESE_SG_EEENS4_IJSJ_SL_SK_EEESQ_SR_lEENS3_INS4_IJSU_SG_SG_EEESW_NS4_IJSN_NSI_IJLi3EEEENSI_IJLi4EEEEEEESO_lEELi128ELi128ELi16ELi2ELi4ELi4ELi1ENSI_IJLi8ELi2EEEES13_NSI_IJLi2ELi1ELi4ELi2EEEENSI_IJLi8ELi1ELi32ELi1EEEENSI_IJLi0ELi3ELi1ELi2EEEES16_NSI_IJLi1ELi1ELi4ELi1EEEES16_NSI_IJLi1ELi1ELi4ELi2EEEES14_S15_S16_S16_S17_S16_S18_NSI_IJLi0ELi1ELi2ELi3ELi4ELi5EEEELi5ELi4EEEDF16_DF16_NS3_INS4_IJSA_SE_SG_SG_NSB_INS4_IJiNS7_IiLi128EEEEEELb0EEENSF_ISC_EEEEENS4_IJSJ_SK_SL_SZ_SP_S10_EEENS4_IJSN_SO_SP_NSI_IJLi6EEEENSI_IJLi7ELi8EEEENSI_IJLi9EEEEEEENSI_IJLi6ELi7ELi8ELi9EEEElEENS3_INS4_IJSU_SE_SG_SG_S1D_S1E_EEENS4_IJSJ_SL_SK_SZ_SP_S10_EEES1K_S1L_lEENS3_INS4_IJSU_SG_SG_NSB_INS4_IJiSC_NS7_IiLi64EEEEEELb0EEES1S_EEENS4_IJSJ_SL_SK_SZ_S10_EEENS4_IJSN_SZ_S10_NSI_IJLi5ELi6ELi7EEEENSI_IJLi8ELi9ELi10EEEEEEENSI_IJLi5ELi6ELi7ELi8ELi9ELi10EEEElEENS_31BlockToCTileMap_M00_N00_M01_N01ILi128ELi128ES12_Lb0EEELb0ELb0EEEvPKT0_S24_PT1_T2_T3_T4_T5_.numbered_sgpr, 32
	.set _ZN2ck19kernel_gemm_dl_v1r3INS_28GridwiseGemmDl_km_kn_mn_v1r3ILi256EDF16_fDF16_LNS_25InMemoryDataOperationEnumE0ENS_16TensorDescriptorINS_5TupleIJNS_5EmbedINS4_IJiiEEENS4_IJNS_17integral_constantIiLi1EEEiEEELb0EEENS_7UnMergeINS4_IJiNS7_IiLi2EEEEEELb0EEENS_11PassThroughIiEEEEENS4_IJNS_8SequenceIJLi0EEEENSI_IJLi2EEEENSI_IJLi1EEEEEEENS4_IJNSI_IJLi1ELi2EEEENSI_IJLi3ELi4EEEENSI_IJLi5EEEEEEENSI_IJLi3ELi5ELi4EEEElEENS3_INS4_IJNS5_IS6_NS4_IJiS8_EEELb0EEESE_SG_EEENS4_IJSJ_SL_SK_EEESQ_SR_lEENS3_INS4_IJSU_SG_SG_EEESW_NS4_IJSN_NSI_IJLi3EEEENSI_IJLi4EEEEEEESO_lEELi128ELi128ELi16ELi2ELi4ELi4ELi1ENSI_IJLi8ELi2EEEES13_NSI_IJLi2ELi1ELi4ELi2EEEENSI_IJLi8ELi1ELi32ELi1EEEENSI_IJLi0ELi3ELi1ELi2EEEES16_NSI_IJLi1ELi1ELi4ELi1EEEES16_NSI_IJLi1ELi1ELi4ELi2EEEES14_S15_S16_S16_S17_S16_S18_NSI_IJLi0ELi1ELi2ELi3ELi4ELi5EEEELi5ELi4EEEDF16_DF16_NS3_INS4_IJSA_SE_SG_SG_NSB_INS4_IJiNS7_IiLi128EEEEEELb0EEENSF_ISC_EEEEENS4_IJSJ_SK_SL_SZ_SP_S10_EEENS4_IJSN_SO_SP_NSI_IJLi6EEEENSI_IJLi7ELi8EEEENSI_IJLi9EEEEEEENSI_IJLi6ELi7ELi8ELi9EEEElEENS3_INS4_IJSU_SE_SG_SG_S1D_S1E_EEENS4_IJSJ_SL_SK_SZ_SP_S10_EEES1K_S1L_lEENS3_INS4_IJSU_SG_SG_NSB_INS4_IJiSC_NS7_IiLi64EEEEEELb0EEES1S_EEENS4_IJSJ_SL_SK_SZ_S10_EEENS4_IJSN_SZ_S10_NSI_IJLi5ELi6ELi7EEEENSI_IJLi8ELi9ELi10EEEEEEENSI_IJLi5ELi6ELi7ELi8ELi9ELi10EEEElEENS_31BlockToCTileMap_M00_N00_M01_N01ILi128ELi128ES12_Lb0EEELb0ELb0EEEvPKT0_S24_PT1_T2_T3_T4_T5_.num_named_barrier, 0
	.set _ZN2ck19kernel_gemm_dl_v1r3INS_28GridwiseGemmDl_km_kn_mn_v1r3ILi256EDF16_fDF16_LNS_25InMemoryDataOperationEnumE0ENS_16TensorDescriptorINS_5TupleIJNS_5EmbedINS4_IJiiEEENS4_IJNS_17integral_constantIiLi1EEEiEEELb0EEENS_7UnMergeINS4_IJiNS7_IiLi2EEEEEELb0EEENS_11PassThroughIiEEEEENS4_IJNS_8SequenceIJLi0EEEENSI_IJLi2EEEENSI_IJLi1EEEEEEENS4_IJNSI_IJLi1ELi2EEEENSI_IJLi3ELi4EEEENSI_IJLi5EEEEEEENSI_IJLi3ELi5ELi4EEEElEENS3_INS4_IJNS5_IS6_NS4_IJiS8_EEELb0EEESE_SG_EEENS4_IJSJ_SL_SK_EEESQ_SR_lEENS3_INS4_IJSU_SG_SG_EEESW_NS4_IJSN_NSI_IJLi3EEEENSI_IJLi4EEEEEEESO_lEELi128ELi128ELi16ELi2ELi4ELi4ELi1ENSI_IJLi8ELi2EEEES13_NSI_IJLi2ELi1ELi4ELi2EEEENSI_IJLi8ELi1ELi32ELi1EEEENSI_IJLi0ELi3ELi1ELi2EEEES16_NSI_IJLi1ELi1ELi4ELi1EEEES16_NSI_IJLi1ELi1ELi4ELi2EEEES14_S15_S16_S16_S17_S16_S18_NSI_IJLi0ELi1ELi2ELi3ELi4ELi5EEEELi5ELi4EEEDF16_DF16_NS3_INS4_IJSA_SE_SG_SG_NSB_INS4_IJiNS7_IiLi128EEEEEELb0EEENSF_ISC_EEEEENS4_IJSJ_SK_SL_SZ_SP_S10_EEENS4_IJSN_SO_SP_NSI_IJLi6EEEENSI_IJLi7ELi8EEEENSI_IJLi9EEEEEEENSI_IJLi6ELi7ELi8ELi9EEEElEENS3_INS4_IJSU_SE_SG_SG_S1D_S1E_EEENS4_IJSJ_SL_SK_SZ_SP_S10_EEES1K_S1L_lEENS3_INS4_IJSU_SG_SG_NSB_INS4_IJiSC_NS7_IiLi64EEEEEELb0EEES1S_EEENS4_IJSJ_SL_SK_SZ_S10_EEENS4_IJSN_SZ_S10_NSI_IJLi5ELi6ELi7EEEENSI_IJLi8ELi9ELi10EEEEEEENSI_IJLi5ELi6ELi7ELi8ELi9ELi10EEEElEENS_31BlockToCTileMap_M00_N00_M01_N01ILi128ELi128ES12_Lb0EEELb0ELb0EEEvPKT0_S24_PT1_T2_T3_T4_T5_.private_seg_size, 0
	.set _ZN2ck19kernel_gemm_dl_v1r3INS_28GridwiseGemmDl_km_kn_mn_v1r3ILi256EDF16_fDF16_LNS_25InMemoryDataOperationEnumE0ENS_16TensorDescriptorINS_5TupleIJNS_5EmbedINS4_IJiiEEENS4_IJNS_17integral_constantIiLi1EEEiEEELb0EEENS_7UnMergeINS4_IJiNS7_IiLi2EEEEEELb0EEENS_11PassThroughIiEEEEENS4_IJNS_8SequenceIJLi0EEEENSI_IJLi2EEEENSI_IJLi1EEEEEEENS4_IJNSI_IJLi1ELi2EEEENSI_IJLi3ELi4EEEENSI_IJLi5EEEEEEENSI_IJLi3ELi5ELi4EEEElEENS3_INS4_IJNS5_IS6_NS4_IJiS8_EEELb0EEESE_SG_EEENS4_IJSJ_SL_SK_EEESQ_SR_lEENS3_INS4_IJSU_SG_SG_EEESW_NS4_IJSN_NSI_IJLi3EEEENSI_IJLi4EEEEEEESO_lEELi128ELi128ELi16ELi2ELi4ELi4ELi1ENSI_IJLi8ELi2EEEES13_NSI_IJLi2ELi1ELi4ELi2EEEENSI_IJLi8ELi1ELi32ELi1EEEENSI_IJLi0ELi3ELi1ELi2EEEES16_NSI_IJLi1ELi1ELi4ELi1EEEES16_NSI_IJLi1ELi1ELi4ELi2EEEES14_S15_S16_S16_S17_S16_S18_NSI_IJLi0ELi1ELi2ELi3ELi4ELi5EEEELi5ELi4EEEDF16_DF16_NS3_INS4_IJSA_SE_SG_SG_NSB_INS4_IJiNS7_IiLi128EEEEEELb0EEENSF_ISC_EEEEENS4_IJSJ_SK_SL_SZ_SP_S10_EEENS4_IJSN_SO_SP_NSI_IJLi6EEEENSI_IJLi7ELi8EEEENSI_IJLi9EEEEEEENSI_IJLi6ELi7ELi8ELi9EEEElEENS3_INS4_IJSU_SE_SG_SG_S1D_S1E_EEENS4_IJSJ_SL_SK_SZ_SP_S10_EEES1K_S1L_lEENS3_INS4_IJSU_SG_SG_NSB_INS4_IJiSC_NS7_IiLi64EEEEEELb0EEES1S_EEENS4_IJSJ_SL_SK_SZ_S10_EEENS4_IJSN_SZ_S10_NSI_IJLi5ELi6ELi7EEEENSI_IJLi8ELi9ELi10EEEEEEENSI_IJLi5ELi6ELi7ELi8ELi9ELi10EEEElEENS_31BlockToCTileMap_M00_N00_M01_N01ILi128ELi128ES12_Lb0EEELb0ELb0EEEvPKT0_S24_PT1_T2_T3_T4_T5_.uses_vcc, 0
	.set _ZN2ck19kernel_gemm_dl_v1r3INS_28GridwiseGemmDl_km_kn_mn_v1r3ILi256EDF16_fDF16_LNS_25InMemoryDataOperationEnumE0ENS_16TensorDescriptorINS_5TupleIJNS_5EmbedINS4_IJiiEEENS4_IJNS_17integral_constantIiLi1EEEiEEELb0EEENS_7UnMergeINS4_IJiNS7_IiLi2EEEEEELb0EEENS_11PassThroughIiEEEEENS4_IJNS_8SequenceIJLi0EEEENSI_IJLi2EEEENSI_IJLi1EEEEEEENS4_IJNSI_IJLi1ELi2EEEENSI_IJLi3ELi4EEEENSI_IJLi5EEEEEEENSI_IJLi3ELi5ELi4EEEElEENS3_INS4_IJNS5_IS6_NS4_IJiS8_EEELb0EEESE_SG_EEENS4_IJSJ_SL_SK_EEESQ_SR_lEENS3_INS4_IJSU_SG_SG_EEESW_NS4_IJSN_NSI_IJLi3EEEENSI_IJLi4EEEEEEESO_lEELi128ELi128ELi16ELi2ELi4ELi4ELi1ENSI_IJLi8ELi2EEEES13_NSI_IJLi2ELi1ELi4ELi2EEEENSI_IJLi8ELi1ELi32ELi1EEEENSI_IJLi0ELi3ELi1ELi2EEEES16_NSI_IJLi1ELi1ELi4ELi1EEEES16_NSI_IJLi1ELi1ELi4ELi2EEEES14_S15_S16_S16_S17_S16_S18_NSI_IJLi0ELi1ELi2ELi3ELi4ELi5EEEELi5ELi4EEEDF16_DF16_NS3_INS4_IJSA_SE_SG_SG_NSB_INS4_IJiNS7_IiLi128EEEEEELb0EEENSF_ISC_EEEEENS4_IJSJ_SK_SL_SZ_SP_S10_EEENS4_IJSN_SO_SP_NSI_IJLi6EEEENSI_IJLi7ELi8EEEENSI_IJLi9EEEEEEENSI_IJLi6ELi7ELi8ELi9EEEElEENS3_INS4_IJSU_SE_SG_SG_S1D_S1E_EEENS4_IJSJ_SL_SK_SZ_SP_S10_EEES1K_S1L_lEENS3_INS4_IJSU_SG_SG_NSB_INS4_IJiSC_NS7_IiLi64EEEEEELb0EEES1S_EEENS4_IJSJ_SL_SK_SZ_S10_EEENS4_IJSN_SZ_S10_NSI_IJLi5ELi6ELi7EEEENSI_IJLi8ELi9ELi10EEEEEEENSI_IJLi5ELi6ELi7ELi8ELi9ELi10EEEElEENS_31BlockToCTileMap_M00_N00_M01_N01ILi128ELi128ES12_Lb0EEELb0ELb0EEEvPKT0_S24_PT1_T2_T3_T4_T5_.uses_flat_scratch, 0
	.set _ZN2ck19kernel_gemm_dl_v1r3INS_28GridwiseGemmDl_km_kn_mn_v1r3ILi256EDF16_fDF16_LNS_25InMemoryDataOperationEnumE0ENS_16TensorDescriptorINS_5TupleIJNS_5EmbedINS4_IJiiEEENS4_IJNS_17integral_constantIiLi1EEEiEEELb0EEENS_7UnMergeINS4_IJiNS7_IiLi2EEEEEELb0EEENS_11PassThroughIiEEEEENS4_IJNS_8SequenceIJLi0EEEENSI_IJLi2EEEENSI_IJLi1EEEEEEENS4_IJNSI_IJLi1ELi2EEEENSI_IJLi3ELi4EEEENSI_IJLi5EEEEEEENSI_IJLi3ELi5ELi4EEEElEENS3_INS4_IJNS5_IS6_NS4_IJiS8_EEELb0EEESE_SG_EEENS4_IJSJ_SL_SK_EEESQ_SR_lEENS3_INS4_IJSU_SG_SG_EEESW_NS4_IJSN_NSI_IJLi3EEEENSI_IJLi4EEEEEEESO_lEELi128ELi128ELi16ELi2ELi4ELi4ELi1ENSI_IJLi8ELi2EEEES13_NSI_IJLi2ELi1ELi4ELi2EEEENSI_IJLi8ELi1ELi32ELi1EEEENSI_IJLi0ELi3ELi1ELi2EEEES16_NSI_IJLi1ELi1ELi4ELi1EEEES16_NSI_IJLi1ELi1ELi4ELi2EEEES14_S15_S16_S16_S17_S16_S18_NSI_IJLi0ELi1ELi2ELi3ELi4ELi5EEEELi5ELi4EEEDF16_DF16_NS3_INS4_IJSA_SE_SG_SG_NSB_INS4_IJiNS7_IiLi128EEEEEELb0EEENSF_ISC_EEEEENS4_IJSJ_SK_SL_SZ_SP_S10_EEENS4_IJSN_SO_SP_NSI_IJLi6EEEENSI_IJLi7ELi8EEEENSI_IJLi9EEEEEEENSI_IJLi6ELi7ELi8ELi9EEEElEENS3_INS4_IJSU_SE_SG_SG_S1D_S1E_EEENS4_IJSJ_SL_SK_SZ_SP_S10_EEES1K_S1L_lEENS3_INS4_IJSU_SG_SG_NSB_INS4_IJiSC_NS7_IiLi64EEEEEELb0EEES1S_EEENS4_IJSJ_SL_SK_SZ_S10_EEENS4_IJSN_SZ_S10_NSI_IJLi5ELi6ELi7EEEENSI_IJLi8ELi9ELi10EEEEEEENSI_IJLi5ELi6ELi7ELi8ELi9ELi10EEEElEENS_31BlockToCTileMap_M00_N00_M01_N01ILi128ELi128ES12_Lb0EEELb0ELb0EEEvPKT0_S24_PT1_T2_T3_T4_T5_.has_dyn_sized_stack, 0
	.set _ZN2ck19kernel_gemm_dl_v1r3INS_28GridwiseGemmDl_km_kn_mn_v1r3ILi256EDF16_fDF16_LNS_25InMemoryDataOperationEnumE0ENS_16TensorDescriptorINS_5TupleIJNS_5EmbedINS4_IJiiEEENS4_IJNS_17integral_constantIiLi1EEEiEEELb0EEENS_7UnMergeINS4_IJiNS7_IiLi2EEEEEELb0EEENS_11PassThroughIiEEEEENS4_IJNS_8SequenceIJLi0EEEENSI_IJLi2EEEENSI_IJLi1EEEEEEENS4_IJNSI_IJLi1ELi2EEEENSI_IJLi3ELi4EEEENSI_IJLi5EEEEEEENSI_IJLi3ELi5ELi4EEEElEENS3_INS4_IJNS5_IS6_NS4_IJiS8_EEELb0EEESE_SG_EEENS4_IJSJ_SL_SK_EEESQ_SR_lEENS3_INS4_IJSU_SG_SG_EEESW_NS4_IJSN_NSI_IJLi3EEEENSI_IJLi4EEEEEEESO_lEELi128ELi128ELi16ELi2ELi4ELi4ELi1ENSI_IJLi8ELi2EEEES13_NSI_IJLi2ELi1ELi4ELi2EEEENSI_IJLi8ELi1ELi32ELi1EEEENSI_IJLi0ELi3ELi1ELi2EEEES16_NSI_IJLi1ELi1ELi4ELi1EEEES16_NSI_IJLi1ELi1ELi4ELi2EEEES14_S15_S16_S16_S17_S16_S18_NSI_IJLi0ELi1ELi2ELi3ELi4ELi5EEEELi5ELi4EEEDF16_DF16_NS3_INS4_IJSA_SE_SG_SG_NSB_INS4_IJiNS7_IiLi128EEEEEELb0EEENSF_ISC_EEEEENS4_IJSJ_SK_SL_SZ_SP_S10_EEENS4_IJSN_SO_SP_NSI_IJLi6EEEENSI_IJLi7ELi8EEEENSI_IJLi9EEEEEEENSI_IJLi6ELi7ELi8ELi9EEEElEENS3_INS4_IJSU_SE_SG_SG_S1D_S1E_EEENS4_IJSJ_SL_SK_SZ_SP_S10_EEES1K_S1L_lEENS3_INS4_IJSU_SG_SG_NSB_INS4_IJiSC_NS7_IiLi64EEEEEELb0EEES1S_EEENS4_IJSJ_SL_SK_SZ_S10_EEENS4_IJSN_SZ_S10_NSI_IJLi5ELi6ELi7EEEENSI_IJLi8ELi9ELi10EEEEEEENSI_IJLi5ELi6ELi7ELi8ELi9ELi10EEEElEENS_31BlockToCTileMap_M00_N00_M01_N01ILi128ELi128ES12_Lb0EEELb0ELb0EEEvPKT0_S24_PT1_T2_T3_T4_T5_.has_recursion, 0
	.set _ZN2ck19kernel_gemm_dl_v1r3INS_28GridwiseGemmDl_km_kn_mn_v1r3ILi256EDF16_fDF16_LNS_25InMemoryDataOperationEnumE0ENS_16TensorDescriptorINS_5TupleIJNS_5EmbedINS4_IJiiEEENS4_IJNS_17integral_constantIiLi1EEEiEEELb0EEENS_7UnMergeINS4_IJiNS7_IiLi2EEEEEELb0EEENS_11PassThroughIiEEEEENS4_IJNS_8SequenceIJLi0EEEENSI_IJLi2EEEENSI_IJLi1EEEEEEENS4_IJNSI_IJLi1ELi2EEEENSI_IJLi3ELi4EEEENSI_IJLi5EEEEEEENSI_IJLi3ELi5ELi4EEEElEENS3_INS4_IJNS5_IS6_NS4_IJiS8_EEELb0EEESE_SG_EEENS4_IJSJ_SL_SK_EEESQ_SR_lEENS3_INS4_IJSU_SG_SG_EEESW_NS4_IJSN_NSI_IJLi3EEEENSI_IJLi4EEEEEEESO_lEELi128ELi128ELi16ELi2ELi4ELi4ELi1ENSI_IJLi8ELi2EEEES13_NSI_IJLi2ELi1ELi4ELi2EEEENSI_IJLi8ELi1ELi32ELi1EEEENSI_IJLi0ELi3ELi1ELi2EEEES16_NSI_IJLi1ELi1ELi4ELi1EEEES16_NSI_IJLi1ELi1ELi4ELi2EEEES14_S15_S16_S16_S17_S16_S18_NSI_IJLi0ELi1ELi2ELi3ELi4ELi5EEEELi5ELi4EEEDF16_DF16_NS3_INS4_IJSA_SE_SG_SG_NSB_INS4_IJiNS7_IiLi128EEEEEELb0EEENSF_ISC_EEEEENS4_IJSJ_SK_SL_SZ_SP_S10_EEENS4_IJSN_SO_SP_NSI_IJLi6EEEENSI_IJLi7ELi8EEEENSI_IJLi9EEEEEEENSI_IJLi6ELi7ELi8ELi9EEEElEENS3_INS4_IJSU_SE_SG_SG_S1D_S1E_EEENS4_IJSJ_SL_SK_SZ_SP_S10_EEES1K_S1L_lEENS3_INS4_IJSU_SG_SG_NSB_INS4_IJiSC_NS7_IiLi64EEEEEELb0EEES1S_EEENS4_IJSJ_SL_SK_SZ_S10_EEENS4_IJSN_SZ_S10_NSI_IJLi5ELi6ELi7EEEENSI_IJLi8ELi9ELi10EEEEEEENSI_IJLi5ELi6ELi7ELi8ELi9ELi10EEEElEENS_31BlockToCTileMap_M00_N00_M01_N01ILi128ELi128ES12_Lb0EEELb0ELb0EEEvPKT0_S24_PT1_T2_T3_T4_T5_.has_indirect_call, 0
	.section	.AMDGPU.csdata,"",@progbits
; Kernel info:
; codeLenInByte = 6312
; TotalNumSgprs: 38
; NumVgprs: 84
; NumAgprs: 0
; TotalNumVgprs: 84
; ScratchSize: 0
; MemoryBound: 0
; FloatMode: 240
; IeeeMode: 1
; LDSByteSize: 32768 bytes/workgroup (compile time only)
; SGPRBlocks: 12
; VGPRBlocks: 10
; NumSGPRsForWavesPerEU: 102
; NumVGPRsForWavesPerEU: 84
; AccumOffset: 84
; Occupancy: 5
; WaveLimiterHint : 0
; COMPUTE_PGM_RSRC2:SCRATCH_EN: 0
; COMPUTE_PGM_RSRC2:USER_SGPR: 2
; COMPUTE_PGM_RSRC2:TRAP_HANDLER: 0
; COMPUTE_PGM_RSRC2:TGID_X_EN: 1
; COMPUTE_PGM_RSRC2:TGID_Y_EN: 0
; COMPUTE_PGM_RSRC2:TGID_Z_EN: 0
; COMPUTE_PGM_RSRC2:TIDIG_COMP_CNT: 0
; COMPUTE_PGM_RSRC3_GFX90A:ACCUM_OFFSET: 20
; COMPUTE_PGM_RSRC3_GFX90A:TG_SPLIT: 0
	.section	.text._ZN2ck17naive_gemm_kernelINS_13tensor_layout4gemm11ColumnMajorENS2_8RowMajorES4_DF16_DF16_DF16_fNS_16tensor_operation12element_wise11PassThroughES7_S7_DF16_DF16_EEvPKT2_PKT3_PT4_iiiT6_T7_T8_,"axG",@progbits,_ZN2ck17naive_gemm_kernelINS_13tensor_layout4gemm11ColumnMajorENS2_8RowMajorES4_DF16_DF16_DF16_fNS_16tensor_operation12element_wise11PassThroughES7_S7_DF16_DF16_EEvPKT2_PKT3_PT4_iiiT6_T7_T8_,comdat
	.protected	_ZN2ck17naive_gemm_kernelINS_13tensor_layout4gemm11ColumnMajorENS2_8RowMajorES4_DF16_DF16_DF16_fNS_16tensor_operation12element_wise11PassThroughES7_S7_DF16_DF16_EEvPKT2_PKT3_PT4_iiiT6_T7_T8_ ; -- Begin function _ZN2ck17naive_gemm_kernelINS_13tensor_layout4gemm11ColumnMajorENS2_8RowMajorES4_DF16_DF16_DF16_fNS_16tensor_operation12element_wise11PassThroughES7_S7_DF16_DF16_EEvPKT2_PKT3_PT4_iiiT6_T7_T8_
	.globl	_ZN2ck17naive_gemm_kernelINS_13tensor_layout4gemm11ColumnMajorENS2_8RowMajorES4_DF16_DF16_DF16_fNS_16tensor_operation12element_wise11PassThroughES7_S7_DF16_DF16_EEvPKT2_PKT3_PT4_iiiT6_T7_T8_
	.p2align	8
	.type	_ZN2ck17naive_gemm_kernelINS_13tensor_layout4gemm11ColumnMajorENS2_8RowMajorES4_DF16_DF16_DF16_fNS_16tensor_operation12element_wise11PassThroughES7_S7_DF16_DF16_EEvPKT2_PKT3_PT4_iiiT6_T7_T8_,@function
_ZN2ck17naive_gemm_kernelINS_13tensor_layout4gemm11ColumnMajorENS2_8RowMajorES4_DF16_DF16_DF16_fNS_16tensor_operation12element_wise11PassThroughES7_S7_DF16_DF16_EEvPKT2_PKT3_PT4_iiiT6_T7_T8_: ; @_ZN2ck17naive_gemm_kernelINS_13tensor_layout4gemm11ColumnMajorENS2_8RowMajorES4_DF16_DF16_DF16_fNS_16tensor_operation12element_wise11PassThroughES7_S7_DF16_DF16_EEvPKT2_PKT3_PT4_iiiT6_T7_T8_
; %bb.0:
	s_load_dword s8, s[0:1], 0x34
	s_load_dwordx4 s[4:7], s[0:1], 0x18
	v_and_b32_e32 v1, 0x3ff, v0
	v_bfe_u32 v0, v0, 10, 10
	s_waitcnt lgkmcnt(0)
	s_lshr_b32 s7, s8, 16
	s_and_b32 s8, s8, 0xffff
	s_mul_i32 s2, s2, s8
	s_mul_i32 s3, s3, s7
	v_add_u32_e32 v1, s2, v1
	v_add_u32_e32 v0, s3, v0
	v_cmp_gt_i32_e32 vcc, s4, v1
	v_cmp_gt_i32_e64 s[2:3], s5, v0
	s_and_b64 s[2:3], vcc, s[2:3]
	s_and_saveexec_b64 s[8:9], s[2:3]
	s_cbranch_execz .LBB5_7
; %bb.1:
	s_load_dwordx2 s[8:9], s[0:1], 0x10
	s_cmp_lt_i32 s6, 1
	s_cbranch_scc1 .LBB5_5
; %bb.2:
	s_load_dwordx4 s[0:3], s[0:1], 0x0
	v_mov_b32_e32 v6, 0
	v_mov_b32_e32 v2, v1
	;; [unrolled: 1-line block ×3, first 2 shown]
.LBB5_3:                                ; =>This Inner Loop Header: Depth=1
	v_ashrrev_i32_e32 v3, 31, v2
	s_waitcnt lgkmcnt(0)
	v_lshl_add_u64 v[8:9], v[2:3], 1, s[0:1]
	v_ashrrev_i32_e32 v5, 31, v4
	global_load_ushort v3, v[8:9], off
	v_lshl_add_u64 v[8:9], v[4:5], 1, s[2:3]
	global_load_ushort v5, v[8:9], off
	s_add_i32 s6, s6, -1
	v_add_u32_e32 v4, s5, v4
	s_cmp_eq_u32 s6, 0
	v_add_u32_e32 v2, s4, v2
	s_waitcnt vmcnt(0)
	v_fma_mix_f32 v6, v3, v5, v6 op_sel_hi:[1,1,0]
	s_cbranch_scc0 .LBB5_3
; %bb.4:
	v_cvt_f16_f32_e32 v2, v6
	s_branch .LBB5_6
.LBB5_5:
	v_mov_b32_e32 v2, 0
.LBB5_6:
	v_mad_u64_u32 v[0:1], s[0:1], v1, s5, v[0:1]
	v_ashrrev_i32_e32 v1, 31, v0
	s_waitcnt lgkmcnt(0)
	v_lshl_add_u64 v[0:1], v[0:1], 1, s[8:9]
	global_store_short v[0:1], v2, off
.LBB5_7:
	s_endpgm
	.section	.rodata,"a",@progbits
	.p2align	6, 0x0
	.amdhsa_kernel _ZN2ck17naive_gemm_kernelINS_13tensor_layout4gemm11ColumnMajorENS2_8RowMajorES4_DF16_DF16_DF16_fNS_16tensor_operation12element_wise11PassThroughES7_S7_DF16_DF16_EEvPKT2_PKT3_PT4_iiiT6_T7_T8_
		.amdhsa_group_segment_fixed_size 0
		.amdhsa_private_segment_fixed_size 0
		.amdhsa_kernarg_size 296
		.amdhsa_user_sgpr_count 2
		.amdhsa_user_sgpr_dispatch_ptr 0
		.amdhsa_user_sgpr_queue_ptr 0
		.amdhsa_user_sgpr_kernarg_segment_ptr 1
		.amdhsa_user_sgpr_dispatch_id 0
		.amdhsa_user_sgpr_kernarg_preload_length 0
		.amdhsa_user_sgpr_kernarg_preload_offset 0
		.amdhsa_user_sgpr_private_segment_size 0
		.amdhsa_uses_dynamic_stack 0
		.amdhsa_enable_private_segment 0
		.amdhsa_system_sgpr_workgroup_id_x 1
		.amdhsa_system_sgpr_workgroup_id_y 1
		.amdhsa_system_sgpr_workgroup_id_z 0
		.amdhsa_system_sgpr_workgroup_info 0
		.amdhsa_system_vgpr_workitem_id 1
		.amdhsa_next_free_vgpr 10
		.amdhsa_next_free_sgpr 10
		.amdhsa_accum_offset 12
		.amdhsa_reserve_vcc 1
		.amdhsa_float_round_mode_32 0
		.amdhsa_float_round_mode_16_64 0
		.amdhsa_float_denorm_mode_32 3
		.amdhsa_float_denorm_mode_16_64 3
		.amdhsa_dx10_clamp 1
		.amdhsa_ieee_mode 1
		.amdhsa_fp16_overflow 0
		.amdhsa_tg_split 0
		.amdhsa_exception_fp_ieee_invalid_op 0
		.amdhsa_exception_fp_denorm_src 0
		.amdhsa_exception_fp_ieee_div_zero 0
		.amdhsa_exception_fp_ieee_overflow 0
		.amdhsa_exception_fp_ieee_underflow 0
		.amdhsa_exception_fp_ieee_inexact 0
		.amdhsa_exception_int_div_zero 0
	.end_amdhsa_kernel
	.section	.text._ZN2ck17naive_gemm_kernelINS_13tensor_layout4gemm11ColumnMajorENS2_8RowMajorES4_DF16_DF16_DF16_fNS_16tensor_operation12element_wise11PassThroughES7_S7_DF16_DF16_EEvPKT2_PKT3_PT4_iiiT6_T7_T8_,"axG",@progbits,_ZN2ck17naive_gemm_kernelINS_13tensor_layout4gemm11ColumnMajorENS2_8RowMajorES4_DF16_DF16_DF16_fNS_16tensor_operation12element_wise11PassThroughES7_S7_DF16_DF16_EEvPKT2_PKT3_PT4_iiiT6_T7_T8_,comdat
.Lfunc_end5:
	.size	_ZN2ck17naive_gemm_kernelINS_13tensor_layout4gemm11ColumnMajorENS2_8RowMajorES4_DF16_DF16_DF16_fNS_16tensor_operation12element_wise11PassThroughES7_S7_DF16_DF16_EEvPKT2_PKT3_PT4_iiiT6_T7_T8_, .Lfunc_end5-_ZN2ck17naive_gemm_kernelINS_13tensor_layout4gemm11ColumnMajorENS2_8RowMajorES4_DF16_DF16_DF16_fNS_16tensor_operation12element_wise11PassThroughES7_S7_DF16_DF16_EEvPKT2_PKT3_PT4_iiiT6_T7_T8_
                                        ; -- End function
	.set _ZN2ck17naive_gemm_kernelINS_13tensor_layout4gemm11ColumnMajorENS2_8RowMajorES4_DF16_DF16_DF16_fNS_16tensor_operation12element_wise11PassThroughES7_S7_DF16_DF16_EEvPKT2_PKT3_PT4_iiiT6_T7_T8_.num_vgpr, 10
	.set _ZN2ck17naive_gemm_kernelINS_13tensor_layout4gemm11ColumnMajorENS2_8RowMajorES4_DF16_DF16_DF16_fNS_16tensor_operation12element_wise11PassThroughES7_S7_DF16_DF16_EEvPKT2_PKT3_PT4_iiiT6_T7_T8_.num_agpr, 0
	.set _ZN2ck17naive_gemm_kernelINS_13tensor_layout4gemm11ColumnMajorENS2_8RowMajorES4_DF16_DF16_DF16_fNS_16tensor_operation12element_wise11PassThroughES7_S7_DF16_DF16_EEvPKT2_PKT3_PT4_iiiT6_T7_T8_.numbered_sgpr, 10
	.set _ZN2ck17naive_gemm_kernelINS_13tensor_layout4gemm11ColumnMajorENS2_8RowMajorES4_DF16_DF16_DF16_fNS_16tensor_operation12element_wise11PassThroughES7_S7_DF16_DF16_EEvPKT2_PKT3_PT4_iiiT6_T7_T8_.num_named_barrier, 0
	.set _ZN2ck17naive_gemm_kernelINS_13tensor_layout4gemm11ColumnMajorENS2_8RowMajorES4_DF16_DF16_DF16_fNS_16tensor_operation12element_wise11PassThroughES7_S7_DF16_DF16_EEvPKT2_PKT3_PT4_iiiT6_T7_T8_.private_seg_size, 0
	.set _ZN2ck17naive_gemm_kernelINS_13tensor_layout4gemm11ColumnMajorENS2_8RowMajorES4_DF16_DF16_DF16_fNS_16tensor_operation12element_wise11PassThroughES7_S7_DF16_DF16_EEvPKT2_PKT3_PT4_iiiT6_T7_T8_.uses_vcc, 1
	.set _ZN2ck17naive_gemm_kernelINS_13tensor_layout4gemm11ColumnMajorENS2_8RowMajorES4_DF16_DF16_DF16_fNS_16tensor_operation12element_wise11PassThroughES7_S7_DF16_DF16_EEvPKT2_PKT3_PT4_iiiT6_T7_T8_.uses_flat_scratch, 0
	.set _ZN2ck17naive_gemm_kernelINS_13tensor_layout4gemm11ColumnMajorENS2_8RowMajorES4_DF16_DF16_DF16_fNS_16tensor_operation12element_wise11PassThroughES7_S7_DF16_DF16_EEvPKT2_PKT3_PT4_iiiT6_T7_T8_.has_dyn_sized_stack, 0
	.set _ZN2ck17naive_gemm_kernelINS_13tensor_layout4gemm11ColumnMajorENS2_8RowMajorES4_DF16_DF16_DF16_fNS_16tensor_operation12element_wise11PassThroughES7_S7_DF16_DF16_EEvPKT2_PKT3_PT4_iiiT6_T7_T8_.has_recursion, 0
	.set _ZN2ck17naive_gemm_kernelINS_13tensor_layout4gemm11ColumnMajorENS2_8RowMajorES4_DF16_DF16_DF16_fNS_16tensor_operation12element_wise11PassThroughES7_S7_DF16_DF16_EEvPKT2_PKT3_PT4_iiiT6_T7_T8_.has_indirect_call, 0
	.section	.AMDGPU.csdata,"",@progbits
; Kernel info:
; codeLenInByte = 248
; TotalNumSgprs: 16
; NumVgprs: 10
; NumAgprs: 0
; TotalNumVgprs: 10
; ScratchSize: 0
; MemoryBound: 0
; FloatMode: 240
; IeeeMode: 1
; LDSByteSize: 0 bytes/workgroup (compile time only)
; SGPRBlocks: 1
; VGPRBlocks: 1
; NumSGPRsForWavesPerEU: 16
; NumVGPRsForWavesPerEU: 10
; AccumOffset: 12
; Occupancy: 8
; WaveLimiterHint : 0
; COMPUTE_PGM_RSRC2:SCRATCH_EN: 0
; COMPUTE_PGM_RSRC2:USER_SGPR: 2
; COMPUTE_PGM_RSRC2:TRAP_HANDLER: 0
; COMPUTE_PGM_RSRC2:TGID_X_EN: 1
; COMPUTE_PGM_RSRC2:TGID_Y_EN: 1
; COMPUTE_PGM_RSRC2:TGID_Z_EN: 0
; COMPUTE_PGM_RSRC2:TIDIG_COMP_CNT: 1
; COMPUTE_PGM_RSRC3_GFX90A:ACCUM_OFFSET: 2
; COMPUTE_PGM_RSRC3_GFX90A:TG_SPLIT: 0
	.section	.AMDGPU.gpr_maximums,"",@progbits
	.set amdgpu.max_num_vgpr, 0
	.set amdgpu.max_num_agpr, 0
	.set amdgpu.max_num_sgpr, 0
	.section	.AMDGPU.csdata,"",@progbits
	.type	__hip_cuid_e38fed01692b152d,@object ; @__hip_cuid_e38fed01692b152d
	.section	.bss,"aw",@nobits
	.globl	__hip_cuid_e38fed01692b152d
__hip_cuid_e38fed01692b152d:
	.byte	0                               ; 0x0
	.size	__hip_cuid_e38fed01692b152d, 1

	.ident	"AMD clang version 22.0.0git (https://github.com/RadeonOpenCompute/llvm-project roc-7.2.4 26084 f58b06dce1f9c15707c5f808fd002e18c2accf7e)"
	.section	".note.GNU-stack","",@progbits
	.addrsig
	.addrsig_sym __hip_cuid_e38fed01692b152d
	.amdgpu_metadata
---
amdhsa.kernels:
  - .agpr_count:     0
    .args:           []
    .group_segment_fixed_size: 0
    .kernarg_segment_align: 4
    .kernarg_segment_size: 0
    .language:       OpenCL C
    .language_version:
      - 2
      - 0
    .max_flat_workgroup_size: 1024
    .name:           _ZN2ckL12flush_icacheEv
    .private_segment_fixed_size: 0
    .sgpr_count:     6
    .sgpr_spill_count: 0
    .symbol:         _ZN2ckL12flush_icacheEv.kd
    .uniform_work_group_size: 1
    .uses_dynamic_stack: false
    .vgpr_count:     0
    .vgpr_spill_count: 0
    .wavefront_size: 64
  - .agpr_count:     0
    .args:
      - .actual_access:  read_only
        .address_space:  global
        .offset:         0
        .size:           8
        .value_kind:     global_buffer
      - .actual_access:  read_only
        .address_space:  global
        .offset:         8
        .size:           8
        .value_kind:     global_buffer
      - .actual_access:  write_only
        .address_space:  global
        .offset:         16
        .size:           8
        .value_kind:     global_buffer
      - .offset:         24
        .size:           64
        .value_kind:     by_value
      - .offset:         88
        .size:           64
        .value_kind:     by_value
      - .offset:         152
        .size:           64
        .value_kind:     by_value
      - .offset:         216
        .size:           112
        .value_kind:     by_value
    .group_segment_fixed_size: 32768
    .kernarg_segment_align: 8
    .kernarg_segment_size: 328
    .language:       OpenCL C
    .language_version:
      - 2
      - 0
    .max_flat_workgroup_size: 256
    .name:           _ZN2ck19kernel_gemm_dl_v1r3INS_28GridwiseGemmDl_km_kn_mn_v1r3ILi256EDF16_fDF16_LNS_25InMemoryDataOperationEnumE0ENS_16TensorDescriptorINS_5TupleIJNS_5EmbedINS4_IJiiEEENS4_IJNS_17integral_constantIiLi1EEEiEEELb0EEENS_7UnMergeINS4_IJiNS7_IiLi2EEEEEELb0EEENS_11PassThroughIiEEEEENS4_IJNS_8SequenceIJLi0EEEENSI_IJLi2EEEENSI_IJLi1EEEEEEENS4_IJNSI_IJLi1ELi2EEEENSI_IJLi3ELi4EEEENSI_IJLi5EEEEEEENSI_IJLi3ELi5ELi4EEEElEENS3_INS4_IJNS5_IS6_NS4_IJiS8_EEELb0EEESE_SG_EEENS4_IJSJ_SL_SK_EEESQ_SR_lEENS3_INS4_IJSU_SG_SG_EEESW_NS4_IJSN_NSI_IJLi3EEEENSI_IJLi4EEEEEEESO_lEELi128ELi128ELi16ELi2ELi4ELi4ELi1ENSI_IJLi8ELi2EEEES13_NSI_IJLi2ELi1ELi4ELi2EEEENSI_IJLi8ELi1ELi32ELi1EEEENSI_IJLi0ELi3ELi1ELi2EEEES16_NSI_IJLi1ELi1ELi4ELi1EEEES16_NSI_IJLi1ELi1ELi4ELi2EEEES14_S15_S16_S16_S17_S16_S18_NSI_IJLi0ELi1ELi2ELi3ELi4ELi5EEEELi5ELi4EEEDF16_DF16_NS3_INS4_IJSA_SE_SG_SG_NSB_INS4_IJiNS7_IiLi128EEEEEELb0EEENSF_ISC_EEEEENS4_IJSJ_SK_SL_SZ_SP_S10_EEENS4_IJSN_SO_SP_NSI_IJLi6EEEENSI_IJLi7ELi8EEEENSI_IJLi9EEEEEEENSI_IJLi6ELi7ELi8ELi9EEEElEENS3_INS4_IJSU_SE_SG_SG_S1D_S1E_EEENS4_IJSJ_SL_SK_SZ_SP_S10_EEES1K_S1L_lEENS3_INS4_IJSU_SG_SG_NSB_INS4_IJiSC_NS7_IiLi64EEEEEELb0EEES1S_EEENS4_IJSJ_SL_SK_SZ_S10_EEENS4_IJSN_SZ_S10_NSI_IJLi5ELi6ELi7EEEENSI_IJLi8ELi9ELi10EEEEEEENSI_IJLi5ELi6ELi7ELi8ELi9ELi10EEEElEENS_31BlockToCTileMap_M00_N00_M01_N01ILi128ELi128ES12_Lb0EEELb1ELb1EEEvPKT0_S24_PT1_T2_T3_T4_T5_
    .private_segment_fixed_size: 0
    .sgpr_count:     49
    .sgpr_spill_count: 0
    .symbol:         _ZN2ck19kernel_gemm_dl_v1r3INS_28GridwiseGemmDl_km_kn_mn_v1r3ILi256EDF16_fDF16_LNS_25InMemoryDataOperationEnumE0ENS_16TensorDescriptorINS_5TupleIJNS_5EmbedINS4_IJiiEEENS4_IJNS_17integral_constantIiLi1EEEiEEELb0EEENS_7UnMergeINS4_IJiNS7_IiLi2EEEEEELb0EEENS_11PassThroughIiEEEEENS4_IJNS_8SequenceIJLi0EEEENSI_IJLi2EEEENSI_IJLi1EEEEEEENS4_IJNSI_IJLi1ELi2EEEENSI_IJLi3ELi4EEEENSI_IJLi5EEEEEEENSI_IJLi3ELi5ELi4EEEElEENS3_INS4_IJNS5_IS6_NS4_IJiS8_EEELb0EEESE_SG_EEENS4_IJSJ_SL_SK_EEESQ_SR_lEENS3_INS4_IJSU_SG_SG_EEESW_NS4_IJSN_NSI_IJLi3EEEENSI_IJLi4EEEEEEESO_lEELi128ELi128ELi16ELi2ELi4ELi4ELi1ENSI_IJLi8ELi2EEEES13_NSI_IJLi2ELi1ELi4ELi2EEEENSI_IJLi8ELi1ELi32ELi1EEEENSI_IJLi0ELi3ELi1ELi2EEEES16_NSI_IJLi1ELi1ELi4ELi1EEEES16_NSI_IJLi1ELi1ELi4ELi2EEEES14_S15_S16_S16_S17_S16_S18_NSI_IJLi0ELi1ELi2ELi3ELi4ELi5EEEELi5ELi4EEEDF16_DF16_NS3_INS4_IJSA_SE_SG_SG_NSB_INS4_IJiNS7_IiLi128EEEEEELb0EEENSF_ISC_EEEEENS4_IJSJ_SK_SL_SZ_SP_S10_EEENS4_IJSN_SO_SP_NSI_IJLi6EEEENSI_IJLi7ELi8EEEENSI_IJLi9EEEEEEENSI_IJLi6ELi7ELi8ELi9EEEElEENS3_INS4_IJSU_SE_SG_SG_S1D_S1E_EEENS4_IJSJ_SL_SK_SZ_SP_S10_EEES1K_S1L_lEENS3_INS4_IJSU_SG_SG_NSB_INS4_IJiSC_NS7_IiLi64EEEEEELb0EEES1S_EEENS4_IJSJ_SL_SK_SZ_S10_EEENS4_IJSN_SZ_S10_NSI_IJLi5ELi6ELi7EEEENSI_IJLi8ELi9ELi10EEEEEEENSI_IJLi5ELi6ELi7ELi8ELi9ELi10EEEElEENS_31BlockToCTileMap_M00_N00_M01_N01ILi128ELi128ES12_Lb0EEELb1ELb1EEEvPKT0_S24_PT1_T2_T3_T4_T5_.kd
    .uniform_work_group_size: 1
    .uses_dynamic_stack: false
    .vgpr_count:     110
    .vgpr_spill_count: 0
    .wavefront_size: 64
  - .agpr_count:     0
    .args:
      - .actual_access:  read_only
        .address_space:  global
        .offset:         0
        .size:           8
        .value_kind:     global_buffer
      - .actual_access:  read_only
        .address_space:  global
        .offset:         8
        .size:           8
        .value_kind:     global_buffer
      - .actual_access:  write_only
        .address_space:  global
        .offset:         16
        .size:           8
        .value_kind:     global_buffer
      - .offset:         24
        .size:           64
        .value_kind:     by_value
      - .offset:         88
        .size:           64
        .value_kind:     by_value
      - .offset:         152
        .size:           64
        .value_kind:     by_value
      - .offset:         216
        .size:           112
        .value_kind:     by_value
    .group_segment_fixed_size: 32768
    .kernarg_segment_align: 8
    .kernarg_segment_size: 328
    .language:       OpenCL C
    .language_version:
      - 2
      - 0
    .max_flat_workgroup_size: 256
    .name:           _ZN2ck19kernel_gemm_dl_v1r3INS_28GridwiseGemmDl_km_kn_mn_v1r3ILi256EDF16_fDF16_LNS_25InMemoryDataOperationEnumE0ENS_16TensorDescriptorINS_5TupleIJNS_5EmbedINS4_IJiiEEENS4_IJNS_17integral_constantIiLi1EEEiEEELb0EEENS_7UnMergeINS4_IJiNS7_IiLi2EEEEEELb0EEENS_11PassThroughIiEEEEENS4_IJNS_8SequenceIJLi0EEEENSI_IJLi2EEEENSI_IJLi1EEEEEEENS4_IJNSI_IJLi1ELi2EEEENSI_IJLi3ELi4EEEENSI_IJLi5EEEEEEENSI_IJLi3ELi5ELi4EEEElEENS3_INS4_IJNS5_IS6_NS4_IJiS8_EEELb0EEESE_SG_EEENS4_IJSJ_SL_SK_EEESQ_SR_lEENS3_INS4_IJSU_SG_SG_EEESW_NS4_IJSN_NSI_IJLi3EEEENSI_IJLi4EEEEEEESO_lEELi128ELi128ELi16ELi2ELi4ELi4ELi1ENSI_IJLi8ELi2EEEES13_NSI_IJLi2ELi1ELi4ELi2EEEENSI_IJLi8ELi1ELi32ELi1EEEENSI_IJLi0ELi3ELi1ELi2EEEES16_NSI_IJLi1ELi1ELi4ELi1EEEES16_NSI_IJLi1ELi1ELi4ELi2EEEES14_S15_S16_S16_S17_S16_S18_NSI_IJLi0ELi1ELi2ELi3ELi4ELi5EEEELi5ELi4EEEDF16_DF16_NS3_INS4_IJSA_SE_SG_SG_NSB_INS4_IJiNS7_IiLi128EEEEEELb0EEENSF_ISC_EEEEENS4_IJSJ_SK_SL_SZ_SP_S10_EEENS4_IJSN_SO_SP_NSI_IJLi6EEEENSI_IJLi7ELi8EEEENSI_IJLi9EEEEEEENSI_IJLi6ELi7ELi8ELi9EEEElEENS3_INS4_IJSU_SE_SG_SG_S1D_S1E_EEENS4_IJSJ_SL_SK_SZ_SP_S10_EEES1K_S1L_lEENS3_INS4_IJSU_SG_SG_NSB_INS4_IJiSC_NS7_IiLi64EEEEEELb0EEES1S_EEENS4_IJSJ_SL_SK_SZ_S10_EEENS4_IJSN_SZ_S10_NSI_IJLi5ELi6ELi7EEEENSI_IJLi8ELi9ELi10EEEEEEENSI_IJLi5ELi6ELi7ELi8ELi9ELi10EEEElEENS_31BlockToCTileMap_M00_N00_M01_N01ILi128ELi128ES12_Lb0EEELb1ELb0EEEvPKT0_S24_PT1_T2_T3_T4_T5_
    .private_segment_fixed_size: 0
    .sgpr_count:     50
    .sgpr_spill_count: 0
    .symbol:         _ZN2ck19kernel_gemm_dl_v1r3INS_28GridwiseGemmDl_km_kn_mn_v1r3ILi256EDF16_fDF16_LNS_25InMemoryDataOperationEnumE0ENS_16TensorDescriptorINS_5TupleIJNS_5EmbedINS4_IJiiEEENS4_IJNS_17integral_constantIiLi1EEEiEEELb0EEENS_7UnMergeINS4_IJiNS7_IiLi2EEEEEELb0EEENS_11PassThroughIiEEEEENS4_IJNS_8SequenceIJLi0EEEENSI_IJLi2EEEENSI_IJLi1EEEEEEENS4_IJNSI_IJLi1ELi2EEEENSI_IJLi3ELi4EEEENSI_IJLi5EEEEEEENSI_IJLi3ELi5ELi4EEEElEENS3_INS4_IJNS5_IS6_NS4_IJiS8_EEELb0EEESE_SG_EEENS4_IJSJ_SL_SK_EEESQ_SR_lEENS3_INS4_IJSU_SG_SG_EEESW_NS4_IJSN_NSI_IJLi3EEEENSI_IJLi4EEEEEEESO_lEELi128ELi128ELi16ELi2ELi4ELi4ELi1ENSI_IJLi8ELi2EEEES13_NSI_IJLi2ELi1ELi4ELi2EEEENSI_IJLi8ELi1ELi32ELi1EEEENSI_IJLi0ELi3ELi1ELi2EEEES16_NSI_IJLi1ELi1ELi4ELi1EEEES16_NSI_IJLi1ELi1ELi4ELi2EEEES14_S15_S16_S16_S17_S16_S18_NSI_IJLi0ELi1ELi2ELi3ELi4ELi5EEEELi5ELi4EEEDF16_DF16_NS3_INS4_IJSA_SE_SG_SG_NSB_INS4_IJiNS7_IiLi128EEEEEELb0EEENSF_ISC_EEEEENS4_IJSJ_SK_SL_SZ_SP_S10_EEENS4_IJSN_SO_SP_NSI_IJLi6EEEENSI_IJLi7ELi8EEEENSI_IJLi9EEEEEEENSI_IJLi6ELi7ELi8ELi9EEEElEENS3_INS4_IJSU_SE_SG_SG_S1D_S1E_EEENS4_IJSJ_SL_SK_SZ_SP_S10_EEES1K_S1L_lEENS3_INS4_IJSU_SG_SG_NSB_INS4_IJiSC_NS7_IiLi64EEEEEELb0EEES1S_EEENS4_IJSJ_SL_SK_SZ_S10_EEENS4_IJSN_SZ_S10_NSI_IJLi5ELi6ELi7EEEENSI_IJLi8ELi9ELi10EEEEEEENSI_IJLi5ELi6ELi7ELi8ELi9ELi10EEEElEENS_31BlockToCTileMap_M00_N00_M01_N01ILi128ELi128ES12_Lb0EEELb1ELb0EEEvPKT0_S24_PT1_T2_T3_T4_T5_.kd
    .uniform_work_group_size: 1
    .uses_dynamic_stack: false
    .vgpr_count:     103
    .vgpr_spill_count: 0
    .wavefront_size: 64
  - .agpr_count:     0
    .args:
      - .actual_access:  read_only
        .address_space:  global
        .offset:         0
        .size:           8
        .value_kind:     global_buffer
      - .actual_access:  read_only
        .address_space:  global
        .offset:         8
        .size:           8
        .value_kind:     global_buffer
      - .actual_access:  write_only
        .address_space:  global
        .offset:         16
        .size:           8
        .value_kind:     global_buffer
      - .offset:         24
        .size:           64
        .value_kind:     by_value
      - .offset:         88
        .size:           64
        .value_kind:     by_value
      - .offset:         152
        .size:           64
        .value_kind:     by_value
      - .offset:         216
        .size:           112
        .value_kind:     by_value
    .group_segment_fixed_size: 32768
    .kernarg_segment_align: 8
    .kernarg_segment_size: 328
    .language:       OpenCL C
    .language_version:
      - 2
      - 0
    .max_flat_workgroup_size: 256
    .name:           _ZN2ck19kernel_gemm_dl_v1r3INS_28GridwiseGemmDl_km_kn_mn_v1r3ILi256EDF16_fDF16_LNS_25InMemoryDataOperationEnumE0ENS_16TensorDescriptorINS_5TupleIJNS_5EmbedINS4_IJiiEEENS4_IJNS_17integral_constantIiLi1EEEiEEELb0EEENS_7UnMergeINS4_IJiNS7_IiLi2EEEEEELb0EEENS_11PassThroughIiEEEEENS4_IJNS_8SequenceIJLi0EEEENSI_IJLi2EEEENSI_IJLi1EEEEEEENS4_IJNSI_IJLi1ELi2EEEENSI_IJLi3ELi4EEEENSI_IJLi5EEEEEEENSI_IJLi3ELi5ELi4EEEElEENS3_INS4_IJNS5_IS6_NS4_IJiS8_EEELb0EEESE_SG_EEENS4_IJSJ_SL_SK_EEESQ_SR_lEENS3_INS4_IJSU_SG_SG_EEESW_NS4_IJSN_NSI_IJLi3EEEENSI_IJLi4EEEEEEESO_lEELi128ELi128ELi16ELi2ELi4ELi4ELi1ENSI_IJLi8ELi2EEEES13_NSI_IJLi2ELi1ELi4ELi2EEEENSI_IJLi8ELi1ELi32ELi1EEEENSI_IJLi0ELi3ELi1ELi2EEEES16_NSI_IJLi1ELi1ELi4ELi1EEEES16_NSI_IJLi1ELi1ELi4ELi2EEEES14_S15_S16_S16_S17_S16_S18_NSI_IJLi0ELi1ELi2ELi3ELi4ELi5EEEELi5ELi4EEEDF16_DF16_NS3_INS4_IJSA_SE_SG_SG_NSB_INS4_IJiNS7_IiLi128EEEEEELb0EEENSF_ISC_EEEEENS4_IJSJ_SK_SL_SZ_SP_S10_EEENS4_IJSN_SO_SP_NSI_IJLi6EEEENSI_IJLi7ELi8EEEENSI_IJLi9EEEEEEENSI_IJLi6ELi7ELi8ELi9EEEElEENS3_INS4_IJSU_SE_SG_SG_S1D_S1E_EEENS4_IJSJ_SL_SK_SZ_SP_S10_EEES1K_S1L_lEENS3_INS4_IJSU_SG_SG_NSB_INS4_IJiSC_NS7_IiLi64EEEEEELb0EEES1S_EEENS4_IJSJ_SL_SK_SZ_S10_EEENS4_IJSN_SZ_S10_NSI_IJLi5ELi6ELi7EEEENSI_IJLi8ELi9ELi10EEEEEEENSI_IJLi5ELi6ELi7ELi8ELi9ELi10EEEElEENS_31BlockToCTileMap_M00_N00_M01_N01ILi128ELi128ES12_Lb0EEELb0ELb1EEEvPKT0_S24_PT1_T2_T3_T4_T5_
    .private_segment_fixed_size: 0
    .sgpr_count:     30
    .sgpr_spill_count: 0
    .symbol:         _ZN2ck19kernel_gemm_dl_v1r3INS_28GridwiseGemmDl_km_kn_mn_v1r3ILi256EDF16_fDF16_LNS_25InMemoryDataOperationEnumE0ENS_16TensorDescriptorINS_5TupleIJNS_5EmbedINS4_IJiiEEENS4_IJNS_17integral_constantIiLi1EEEiEEELb0EEENS_7UnMergeINS4_IJiNS7_IiLi2EEEEEELb0EEENS_11PassThroughIiEEEEENS4_IJNS_8SequenceIJLi0EEEENSI_IJLi2EEEENSI_IJLi1EEEEEEENS4_IJNSI_IJLi1ELi2EEEENSI_IJLi3ELi4EEEENSI_IJLi5EEEEEEENSI_IJLi3ELi5ELi4EEEElEENS3_INS4_IJNS5_IS6_NS4_IJiS8_EEELb0EEESE_SG_EEENS4_IJSJ_SL_SK_EEESQ_SR_lEENS3_INS4_IJSU_SG_SG_EEESW_NS4_IJSN_NSI_IJLi3EEEENSI_IJLi4EEEEEEESO_lEELi128ELi128ELi16ELi2ELi4ELi4ELi1ENSI_IJLi8ELi2EEEES13_NSI_IJLi2ELi1ELi4ELi2EEEENSI_IJLi8ELi1ELi32ELi1EEEENSI_IJLi0ELi3ELi1ELi2EEEES16_NSI_IJLi1ELi1ELi4ELi1EEEES16_NSI_IJLi1ELi1ELi4ELi2EEEES14_S15_S16_S16_S17_S16_S18_NSI_IJLi0ELi1ELi2ELi3ELi4ELi5EEEELi5ELi4EEEDF16_DF16_NS3_INS4_IJSA_SE_SG_SG_NSB_INS4_IJiNS7_IiLi128EEEEEELb0EEENSF_ISC_EEEEENS4_IJSJ_SK_SL_SZ_SP_S10_EEENS4_IJSN_SO_SP_NSI_IJLi6EEEENSI_IJLi7ELi8EEEENSI_IJLi9EEEEEEENSI_IJLi6ELi7ELi8ELi9EEEElEENS3_INS4_IJSU_SE_SG_SG_S1D_S1E_EEENS4_IJSJ_SL_SK_SZ_SP_S10_EEES1K_S1L_lEENS3_INS4_IJSU_SG_SG_NSB_INS4_IJiSC_NS7_IiLi64EEEEEELb0EEES1S_EEENS4_IJSJ_SL_SK_SZ_S10_EEENS4_IJSN_SZ_S10_NSI_IJLi5ELi6ELi7EEEENSI_IJLi8ELi9ELi10EEEEEEENSI_IJLi5ELi6ELi7ELi8ELi9ELi10EEEElEENS_31BlockToCTileMap_M00_N00_M01_N01ILi128ELi128ES12_Lb0EEELb0ELb1EEEvPKT0_S24_PT1_T2_T3_T4_T5_.kd
    .uniform_work_group_size: 1
    .uses_dynamic_stack: false
    .vgpr_count:     104
    .vgpr_spill_count: 0
    .wavefront_size: 64
  - .agpr_count:     0
    .args:
      - .actual_access:  read_only
        .address_space:  global
        .offset:         0
        .size:           8
        .value_kind:     global_buffer
      - .actual_access:  read_only
        .address_space:  global
        .offset:         8
        .size:           8
        .value_kind:     global_buffer
      - .actual_access:  write_only
        .address_space:  global
        .offset:         16
        .size:           8
        .value_kind:     global_buffer
      - .offset:         24
        .size:           64
        .value_kind:     by_value
      - .offset:         88
        .size:           64
        .value_kind:     by_value
      - .offset:         152
        .size:           64
        .value_kind:     by_value
      - .offset:         216
        .size:           112
        .value_kind:     by_value
    .group_segment_fixed_size: 32768
    .kernarg_segment_align: 8
    .kernarg_segment_size: 328
    .language:       OpenCL C
    .language_version:
      - 2
      - 0
    .max_flat_workgroup_size: 256
    .name:           _ZN2ck19kernel_gemm_dl_v1r3INS_28GridwiseGemmDl_km_kn_mn_v1r3ILi256EDF16_fDF16_LNS_25InMemoryDataOperationEnumE0ENS_16TensorDescriptorINS_5TupleIJNS_5EmbedINS4_IJiiEEENS4_IJNS_17integral_constantIiLi1EEEiEEELb0EEENS_7UnMergeINS4_IJiNS7_IiLi2EEEEEELb0EEENS_11PassThroughIiEEEEENS4_IJNS_8SequenceIJLi0EEEENSI_IJLi2EEEENSI_IJLi1EEEEEEENS4_IJNSI_IJLi1ELi2EEEENSI_IJLi3ELi4EEEENSI_IJLi5EEEEEEENSI_IJLi3ELi5ELi4EEEElEENS3_INS4_IJNS5_IS6_NS4_IJiS8_EEELb0EEESE_SG_EEENS4_IJSJ_SL_SK_EEESQ_SR_lEENS3_INS4_IJSU_SG_SG_EEESW_NS4_IJSN_NSI_IJLi3EEEENSI_IJLi4EEEEEEESO_lEELi128ELi128ELi16ELi2ELi4ELi4ELi1ENSI_IJLi8ELi2EEEES13_NSI_IJLi2ELi1ELi4ELi2EEEENSI_IJLi8ELi1ELi32ELi1EEEENSI_IJLi0ELi3ELi1ELi2EEEES16_NSI_IJLi1ELi1ELi4ELi1EEEES16_NSI_IJLi1ELi1ELi4ELi2EEEES14_S15_S16_S16_S17_S16_S18_NSI_IJLi0ELi1ELi2ELi3ELi4ELi5EEEELi5ELi4EEEDF16_DF16_NS3_INS4_IJSA_SE_SG_SG_NSB_INS4_IJiNS7_IiLi128EEEEEELb0EEENSF_ISC_EEEEENS4_IJSJ_SK_SL_SZ_SP_S10_EEENS4_IJSN_SO_SP_NSI_IJLi6EEEENSI_IJLi7ELi8EEEENSI_IJLi9EEEEEEENSI_IJLi6ELi7ELi8ELi9EEEElEENS3_INS4_IJSU_SE_SG_SG_S1D_S1E_EEENS4_IJSJ_SL_SK_SZ_SP_S10_EEES1K_S1L_lEENS3_INS4_IJSU_SG_SG_NSB_INS4_IJiSC_NS7_IiLi64EEEEEELb0EEES1S_EEENS4_IJSJ_SL_SK_SZ_S10_EEENS4_IJSN_SZ_S10_NSI_IJLi5ELi6ELi7EEEENSI_IJLi8ELi9ELi10EEEEEEENSI_IJLi5ELi6ELi7ELi8ELi9ELi10EEEElEENS_31BlockToCTileMap_M00_N00_M01_N01ILi128ELi128ES12_Lb0EEELb0ELb0EEEvPKT0_S24_PT1_T2_T3_T4_T5_
    .private_segment_fixed_size: 0
    .sgpr_count:     38
    .sgpr_spill_count: 0
    .symbol:         _ZN2ck19kernel_gemm_dl_v1r3INS_28GridwiseGemmDl_km_kn_mn_v1r3ILi256EDF16_fDF16_LNS_25InMemoryDataOperationEnumE0ENS_16TensorDescriptorINS_5TupleIJNS_5EmbedINS4_IJiiEEENS4_IJNS_17integral_constantIiLi1EEEiEEELb0EEENS_7UnMergeINS4_IJiNS7_IiLi2EEEEEELb0EEENS_11PassThroughIiEEEEENS4_IJNS_8SequenceIJLi0EEEENSI_IJLi2EEEENSI_IJLi1EEEEEEENS4_IJNSI_IJLi1ELi2EEEENSI_IJLi3ELi4EEEENSI_IJLi5EEEEEEENSI_IJLi3ELi5ELi4EEEElEENS3_INS4_IJNS5_IS6_NS4_IJiS8_EEELb0EEESE_SG_EEENS4_IJSJ_SL_SK_EEESQ_SR_lEENS3_INS4_IJSU_SG_SG_EEESW_NS4_IJSN_NSI_IJLi3EEEENSI_IJLi4EEEEEEESO_lEELi128ELi128ELi16ELi2ELi4ELi4ELi1ENSI_IJLi8ELi2EEEES13_NSI_IJLi2ELi1ELi4ELi2EEEENSI_IJLi8ELi1ELi32ELi1EEEENSI_IJLi0ELi3ELi1ELi2EEEES16_NSI_IJLi1ELi1ELi4ELi1EEEES16_NSI_IJLi1ELi1ELi4ELi2EEEES14_S15_S16_S16_S17_S16_S18_NSI_IJLi0ELi1ELi2ELi3ELi4ELi5EEEELi5ELi4EEEDF16_DF16_NS3_INS4_IJSA_SE_SG_SG_NSB_INS4_IJiNS7_IiLi128EEEEEELb0EEENSF_ISC_EEEEENS4_IJSJ_SK_SL_SZ_SP_S10_EEENS4_IJSN_SO_SP_NSI_IJLi6EEEENSI_IJLi7ELi8EEEENSI_IJLi9EEEEEEENSI_IJLi6ELi7ELi8ELi9EEEElEENS3_INS4_IJSU_SE_SG_SG_S1D_S1E_EEENS4_IJSJ_SL_SK_SZ_SP_S10_EEES1K_S1L_lEENS3_INS4_IJSU_SG_SG_NSB_INS4_IJiSC_NS7_IiLi64EEEEEELb0EEES1S_EEENS4_IJSJ_SL_SK_SZ_S10_EEENS4_IJSN_SZ_S10_NSI_IJLi5ELi6ELi7EEEENSI_IJLi8ELi9ELi10EEEEEEENSI_IJLi5ELi6ELi7ELi8ELi9ELi10EEEElEENS_31BlockToCTileMap_M00_N00_M01_N01ILi128ELi128ES12_Lb0EEELb0ELb0EEEvPKT0_S24_PT1_T2_T3_T4_T5_.kd
    .uniform_work_group_size: 1
    .uses_dynamic_stack: false
    .vgpr_count:     84
    .vgpr_spill_count: 0
    .wavefront_size: 64
  - .agpr_count:     0
    .args:
      - .actual_access:  read_only
        .address_space:  global
        .offset:         0
        .size:           8
        .value_kind:     global_buffer
      - .actual_access:  read_only
        .address_space:  global
        .offset:         8
        .size:           8
        .value_kind:     global_buffer
      - .actual_access:  write_only
        .address_space:  global
        .offset:         16
        .size:           8
        .value_kind:     global_buffer
      - .offset:         24
        .size:           4
        .value_kind:     by_value
      - .offset:         28
        .size:           4
        .value_kind:     by_value
      - .offset:         32
        .size:           4
        .value_kind:     by_value
      - .offset:         36
        .size:           1
        .value_kind:     by_value
      - .offset:         37
        .size:           1
        .value_kind:     by_value
      - .offset:         38
        .size:           1
        .value_kind:     by_value
      - .offset:         40
        .size:           4
        .value_kind:     hidden_block_count_x
      - .offset:         44
        .size:           4
        .value_kind:     hidden_block_count_y
      - .offset:         48
        .size:           4
        .value_kind:     hidden_block_count_z
      - .offset:         52
        .size:           2
        .value_kind:     hidden_group_size_x
      - .offset:         54
        .size:           2
        .value_kind:     hidden_group_size_y
      - .offset:         56
        .size:           2
        .value_kind:     hidden_group_size_z
      - .offset:         58
        .size:           2
        .value_kind:     hidden_remainder_x
      - .offset:         60
        .size:           2
        .value_kind:     hidden_remainder_y
      - .offset:         62
        .size:           2
        .value_kind:     hidden_remainder_z
      - .offset:         80
        .size:           8
        .value_kind:     hidden_global_offset_x
      - .offset:         88
        .size:           8
        .value_kind:     hidden_global_offset_y
      - .offset:         96
        .size:           8
        .value_kind:     hidden_global_offset_z
      - .offset:         104
        .size:           2
        .value_kind:     hidden_grid_dims
    .group_segment_fixed_size: 0
    .kernarg_segment_align: 8
    .kernarg_segment_size: 296
    .language:       OpenCL C
    .language_version:
      - 2
      - 0
    .max_flat_workgroup_size: 256
    .name:           _ZN2ck17naive_gemm_kernelINS_13tensor_layout4gemm11ColumnMajorENS2_8RowMajorES4_DF16_DF16_DF16_fNS_16tensor_operation12element_wise11PassThroughES7_S7_DF16_DF16_EEvPKT2_PKT3_PT4_iiiT6_T7_T8_
    .private_segment_fixed_size: 0
    .sgpr_count:     16
    .sgpr_spill_count: 0
    .symbol:         _ZN2ck17naive_gemm_kernelINS_13tensor_layout4gemm11ColumnMajorENS2_8RowMajorES4_DF16_DF16_DF16_fNS_16tensor_operation12element_wise11PassThroughES7_S7_DF16_DF16_EEvPKT2_PKT3_PT4_iiiT6_T7_T8_.kd
    .uniform_work_group_size: 1
    .uses_dynamic_stack: false
    .vgpr_count:     10
    .vgpr_spill_count: 0
    .wavefront_size: 64
amdhsa.target:   amdgcn-amd-amdhsa--gfx950
amdhsa.version:
  - 1
  - 2
...

	.end_amdgpu_metadata
